;; amdgpu-corpus repo=ROCm/rocFFT kind=compiled arch=gfx906 opt=O3
	.text
	.amdgcn_target "amdgcn-amd-amdhsa--gfx906"
	.amdhsa_code_object_version 6
	.protected	fft_rtc_fwd_len1188_factors_6_11_2_3_3_wgs_198_tpt_66_halfLds_half_ip_CI_unitstride_sbrr_R2C_dirReg ; -- Begin function fft_rtc_fwd_len1188_factors_6_11_2_3_3_wgs_198_tpt_66_halfLds_half_ip_CI_unitstride_sbrr_R2C_dirReg
	.globl	fft_rtc_fwd_len1188_factors_6_11_2_3_3_wgs_198_tpt_66_halfLds_half_ip_CI_unitstride_sbrr_R2C_dirReg
	.p2align	8
	.type	fft_rtc_fwd_len1188_factors_6_11_2_3_3_wgs_198_tpt_66_halfLds_half_ip_CI_unitstride_sbrr_R2C_dirReg,@function
fft_rtc_fwd_len1188_factors_6_11_2_3_3_wgs_198_tpt_66_halfLds_half_ip_CI_unitstride_sbrr_R2C_dirReg: ; @fft_rtc_fwd_len1188_factors_6_11_2_3_3_wgs_198_tpt_66_halfLds_half_ip_CI_unitstride_sbrr_R2C_dirReg
; %bb.0:
	s_load_dwordx2 s[2:3], s[4:5], 0x50
	s_load_dwordx4 s[8:11], s[4:5], 0x0
	s_load_dwordx2 s[12:13], s[4:5], 0x18
	v_mul_u32_u24_e32 v1, 0x3e1, v0
	v_lshrrev_b32_e32 v1, 16, v1
	v_mad_u64_u32 v[1:2], s[0:1], s6, 3, v[1:2]
	v_mov_b32_e32 v5, 0
	s_waitcnt lgkmcnt(0)
	v_cmp_lt_u64_e64 s[0:1], s[10:11], 2
	v_mov_b32_e32 v2, v5
	v_mov_b32_e32 v3, 0
	;; [unrolled: 1-line block ×3, first 2 shown]
	s_and_b64 vcc, exec, s[0:1]
	v_mov_b32_e32 v4, 0
	v_mov_b32_e32 v9, v1
	s_cbranch_vccnz .LBB0_8
; %bb.1:
	s_load_dwordx2 s[0:1], s[4:5], 0x10
	s_add_u32 s6, s12, 8
	s_addc_u32 s7, s13, 0
	v_mov_b32_e32 v3, 0
	v_mov_b32_e32 v8, v2
	s_waitcnt lgkmcnt(0)
	s_add_u32 s16, s0, 8
	s_mov_b64 s[14:15], 1
	v_mov_b32_e32 v4, 0
	s_addc_u32 s17, s1, 0
	v_mov_b32_e32 v7, v1
.LBB0_2:                                ; =>This Inner Loop Header: Depth=1
	s_load_dwordx2 s[18:19], s[16:17], 0x0
                                        ; implicit-def: $vgpr9_vgpr10
	s_waitcnt lgkmcnt(0)
	v_or_b32_e32 v6, s19, v8
	v_cmp_ne_u64_e32 vcc, 0, v[5:6]
	s_and_saveexec_b64 s[0:1], vcc
	s_xor_b64 s[20:21], exec, s[0:1]
	s_cbranch_execz .LBB0_4
; %bb.3:                                ;   in Loop: Header=BB0_2 Depth=1
	v_cvt_f32_u32_e32 v2, s18
	v_cvt_f32_u32_e32 v6, s19
	s_sub_u32 s0, 0, s18
	s_subb_u32 s1, 0, s19
	v_mac_f32_e32 v2, 0x4f800000, v6
	v_rcp_f32_e32 v2, v2
	v_mul_f32_e32 v2, 0x5f7ffffc, v2
	v_mul_f32_e32 v6, 0x2f800000, v2
	v_trunc_f32_e32 v6, v6
	v_mac_f32_e32 v2, 0xcf800000, v6
	v_cvt_u32_f32_e32 v6, v6
	v_cvt_u32_f32_e32 v2, v2
	v_mul_lo_u32 v9, s0, v6
	v_mul_hi_u32 v10, s0, v2
	v_mul_lo_u32 v12, s1, v2
	v_mul_lo_u32 v11, s0, v2
	v_add_u32_e32 v9, v10, v9
	v_add_u32_e32 v9, v9, v12
	v_mul_hi_u32 v10, v2, v11
	v_mul_lo_u32 v12, v2, v9
	v_mul_hi_u32 v14, v2, v9
	v_mul_hi_u32 v13, v6, v11
	v_mul_lo_u32 v11, v6, v11
	v_mul_hi_u32 v15, v6, v9
	v_add_co_u32_e32 v10, vcc, v10, v12
	v_addc_co_u32_e32 v12, vcc, 0, v14, vcc
	v_mul_lo_u32 v9, v6, v9
	v_add_co_u32_e32 v10, vcc, v10, v11
	v_addc_co_u32_e32 v10, vcc, v12, v13, vcc
	v_addc_co_u32_e32 v11, vcc, 0, v15, vcc
	v_add_co_u32_e32 v9, vcc, v10, v9
	v_addc_co_u32_e32 v10, vcc, 0, v11, vcc
	v_add_co_u32_e32 v2, vcc, v2, v9
	v_addc_co_u32_e32 v6, vcc, v6, v10, vcc
	v_mul_lo_u32 v9, s0, v6
	v_mul_hi_u32 v10, s0, v2
	v_mul_lo_u32 v11, s1, v2
	v_mul_lo_u32 v12, s0, v2
	v_add_u32_e32 v9, v10, v9
	v_add_u32_e32 v9, v9, v11
	v_mul_lo_u32 v13, v2, v9
	v_mul_hi_u32 v14, v2, v12
	v_mul_hi_u32 v15, v2, v9
	;; [unrolled: 1-line block ×3, first 2 shown]
	v_mul_lo_u32 v12, v6, v12
	v_mul_hi_u32 v10, v6, v9
	v_add_co_u32_e32 v13, vcc, v14, v13
	v_addc_co_u32_e32 v14, vcc, 0, v15, vcc
	v_mul_lo_u32 v9, v6, v9
	v_add_co_u32_e32 v12, vcc, v13, v12
	v_addc_co_u32_e32 v11, vcc, v14, v11, vcc
	v_addc_co_u32_e32 v10, vcc, 0, v10, vcc
	v_add_co_u32_e32 v9, vcc, v11, v9
	v_addc_co_u32_e32 v10, vcc, 0, v10, vcc
	v_add_co_u32_e32 v2, vcc, v2, v9
	v_addc_co_u32_e32 v6, vcc, v6, v10, vcc
	v_mad_u64_u32 v[9:10], s[0:1], v7, v6, 0
	v_mul_hi_u32 v11, v7, v2
	v_add_co_u32_e32 v13, vcc, v11, v9
	v_addc_co_u32_e32 v14, vcc, 0, v10, vcc
	v_mad_u64_u32 v[9:10], s[0:1], v8, v2, 0
	v_mad_u64_u32 v[11:12], s[0:1], v8, v6, 0
	v_add_co_u32_e32 v2, vcc, v13, v9
	v_addc_co_u32_e32 v2, vcc, v14, v10, vcc
	v_addc_co_u32_e32 v6, vcc, 0, v12, vcc
	v_add_co_u32_e32 v2, vcc, v2, v11
	v_addc_co_u32_e32 v6, vcc, 0, v6, vcc
	v_mul_lo_u32 v11, s19, v2
	v_mul_lo_u32 v12, s18, v6
	v_mad_u64_u32 v[9:10], s[0:1], s18, v2, 0
	v_add3_u32 v10, v10, v12, v11
	v_sub_u32_e32 v11, v8, v10
	v_mov_b32_e32 v12, s19
	v_sub_co_u32_e32 v9, vcc, v7, v9
	v_subb_co_u32_e64 v11, s[0:1], v11, v12, vcc
	v_subrev_co_u32_e64 v12, s[0:1], s18, v9
	v_subbrev_co_u32_e64 v11, s[0:1], 0, v11, s[0:1]
	v_cmp_le_u32_e64 s[0:1], s19, v11
	v_cndmask_b32_e64 v13, 0, -1, s[0:1]
	v_cmp_le_u32_e64 s[0:1], s18, v12
	v_cndmask_b32_e64 v12, 0, -1, s[0:1]
	v_cmp_eq_u32_e64 s[0:1], s19, v11
	v_cndmask_b32_e64 v11, v13, v12, s[0:1]
	v_add_co_u32_e64 v12, s[0:1], 2, v2
	v_addc_co_u32_e64 v13, s[0:1], 0, v6, s[0:1]
	v_add_co_u32_e64 v14, s[0:1], 1, v2
	v_addc_co_u32_e64 v15, s[0:1], 0, v6, s[0:1]
	v_subb_co_u32_e32 v10, vcc, v8, v10, vcc
	v_cmp_ne_u32_e64 s[0:1], 0, v11
	v_cmp_le_u32_e32 vcc, s19, v10
	v_cndmask_b32_e64 v11, v15, v13, s[0:1]
	v_cndmask_b32_e64 v13, 0, -1, vcc
	v_cmp_le_u32_e32 vcc, s18, v9
	v_cndmask_b32_e64 v9, 0, -1, vcc
	v_cmp_eq_u32_e32 vcc, s19, v10
	v_cndmask_b32_e32 v9, v13, v9, vcc
	v_cmp_ne_u32_e32 vcc, 0, v9
	v_cndmask_b32_e32 v10, v6, v11, vcc
	v_cndmask_b32_e64 v6, v14, v12, s[0:1]
	v_cndmask_b32_e32 v9, v2, v6, vcc
.LBB0_4:                                ;   in Loop: Header=BB0_2 Depth=1
	s_andn2_saveexec_b64 s[0:1], s[20:21]
	s_cbranch_execz .LBB0_6
; %bb.5:                                ;   in Loop: Header=BB0_2 Depth=1
	v_cvt_f32_u32_e32 v2, s18
	s_sub_i32 s20, 0, s18
	v_rcp_iflag_f32_e32 v2, v2
	v_mul_f32_e32 v2, 0x4f7ffffe, v2
	v_cvt_u32_f32_e32 v2, v2
	v_mul_lo_u32 v6, s20, v2
	v_mul_hi_u32 v6, v2, v6
	v_add_u32_e32 v2, v2, v6
	v_mul_hi_u32 v2, v7, v2
	v_mul_lo_u32 v6, v2, s18
	v_add_u32_e32 v9, 1, v2
	v_sub_u32_e32 v6, v7, v6
	v_subrev_u32_e32 v10, s18, v6
	v_cmp_le_u32_e32 vcc, s18, v6
	v_cndmask_b32_e32 v6, v6, v10, vcc
	v_cndmask_b32_e32 v2, v2, v9, vcc
	v_add_u32_e32 v9, 1, v2
	v_cmp_le_u32_e32 vcc, s18, v6
	v_cndmask_b32_e32 v9, v2, v9, vcc
	v_mov_b32_e32 v10, v5
.LBB0_6:                                ;   in Loop: Header=BB0_2 Depth=1
	s_or_b64 exec, exec, s[0:1]
	v_mul_lo_u32 v2, v10, s18
	v_mul_lo_u32 v6, v9, s19
	v_mad_u64_u32 v[11:12], s[0:1], v9, s18, 0
	s_load_dwordx2 s[0:1], s[6:7], 0x0
	s_add_u32 s14, s14, 1
	v_add3_u32 v2, v12, v6, v2
	v_sub_co_u32_e32 v6, vcc, v7, v11
	v_subb_co_u32_e32 v2, vcc, v8, v2, vcc
	s_waitcnt lgkmcnt(0)
	v_mul_lo_u32 v2, s0, v2
	v_mul_lo_u32 v7, s1, v6
	v_mad_u64_u32 v[3:4], s[0:1], s0, v6, v[3:4]
	s_addc_u32 s15, s15, 0
	s_add_u32 s6, s6, 8
	v_add3_u32 v4, v7, v4, v2
	v_mov_b32_e32 v6, s10
	v_mov_b32_e32 v7, s11
	s_addc_u32 s7, s7, 0
	v_cmp_ge_u64_e32 vcc, s[14:15], v[6:7]
	s_add_u32 s16, s16, 8
	s_addc_u32 s17, s17, 0
	s_cbranch_vccnz .LBB0_8
; %bb.7:                                ;   in Loop: Header=BB0_2 Depth=1
	v_mov_b32_e32 v7, v9
	v_mov_b32_e32 v8, v10
	s_branch .LBB0_2
.LBB0_8:
	s_lshl_b64 s[0:1], s[10:11], 3
	s_add_u32 s0, s12, s0
	s_addc_u32 s1, s13, s1
	s_load_dwordx2 s[0:1], s[0:1], 0x0
	s_mov_b32 s6, 0xaaaaaaab
	v_mul_hi_u32 v5, v1, s6
	s_load_dwordx2 s[4:5], s[4:5], 0x20
	s_waitcnt lgkmcnt(0)
	v_mul_lo_u32 v6, s0, v10
	v_mul_lo_u32 v7, s1, v9
	v_mad_u64_u32 v[2:3], s[0:1], s0, v9, v[3:4]
	s_mov_b32 s0, 0x3e0f83f
	v_lshrrev_b32_e32 v4, 1, v5
	v_mul_hi_u32 v5, v0, s0
	v_lshl_add_u32 v4, v4, 1, v4
	v_sub_u32_e32 v1, v1, v4
	v_cmp_gt_u64_e64 s[0:1], s[4:5], v[9:10]
	v_cmp_le_u64_e32 vcc, s[4:5], v[9:10]
	v_mul_u32_u24_e32 v4, 0x42, v5
	v_add3_u32 v3, v7, v3, v6
	v_sub_u32_e32 v0, v0, v4
                                        ; implicit-def: $vgpr4
                                        ; implicit-def: $vgpr6
	s_and_saveexec_b64 s[4:5], vcc
	s_xor_b64 s[4:5], exec, s[4:5]
; %bb.9:
	v_add_u32_e32 v4, 0x42, v0
	v_add_u32_e32 v6, 0x84, v0
; %bb.10:
	s_or_saveexec_b64 s[4:5], s[4:5]
	v_mul_u32_u24_e32 v1, 0x4a5, v1
	v_lshlrev_b64 v[2:3], 2, v[2:3]
	v_lshlrev_b32_e32 v30, 2, v1
	v_lshlrev_b32_e32 v5, 2, v0
	s_xor_b64 exec, exec, s[4:5]
	s_cbranch_execz .LBB0_12
; %bb.11:
	v_mov_b32_e32 v1, 0
	v_mov_b32_e32 v4, s3
	v_add_co_u32_e32 v8, vcc, s2, v2
	v_lshlrev_b64 v[6:7], 2, v[0:1]
	v_addc_co_u32_e32 v4, vcc, v4, v3, vcc
	v_add_co_u32_e32 v6, vcc, v8, v6
	v_addc_co_u32_e32 v7, vcc, v4, v7, vcc
	global_load_dword v1, v[6:7], off offset:1320
	global_load_dword v10, v[6:7], off offset:1584
	;; [unrolled: 1-line block ×3, first 2 shown]
	global_load_dword v12, v[6:7], off
	global_load_dword v13, v[6:7], off offset:264
	global_load_dword v14, v[6:7], off offset:528
	;; [unrolled: 1-line block ×4, first 2 shown]
	v_add_co_u32_e32 v8, vcc, 0x1000, v6
	v_addc_co_u32_e32 v9, vcc, 0, v7, vcc
	global_load_dword v17, v[6:7], off offset:2112
	global_load_dword v18, v[6:7], off offset:2376
	;; [unrolled: 1-line block ×10, first 2 shown]
	v_add3_u32 v7, 0, v30, v5
	v_add_u32_e32 v4, 0x42, v0
	v_add_u32_e32 v6, 0x84, v0
	;; [unrolled: 1-line block ×5, first 2 shown]
	s_waitcnt vmcnt(13)
	ds_write2_b32 v7, v12, v13 offset1:66
	s_waitcnt vmcnt(11)
	ds_write2_b32 v8, v15, v1 offset0:8 offset1:74
	ds_write2_b32 v8, v10, v11 offset0:140 offset1:206
	s_waitcnt vmcnt(8)
	ds_write2_b32 v9, v17, v18 offset0:16 offset1:82
	s_waitcnt vmcnt(6)
	ds_write2_b32 v9, v19, v20 offset0:148 offset1:214
	ds_write2_b32 v7, v14, v16 offset0:132 offset1:198
	s_waitcnt vmcnt(4)
	ds_write2_b32 v27, v21, v22 offset0:24 offset1:90
	s_waitcnt vmcnt(2)
	ds_write2_b32 v27, v23, v24 offset0:156 offset1:222
	v_add_u32_e32 v1, 0x1000, v7
	s_waitcnt vmcnt(0)
	ds_write2_b32 v1, v25, v26 offset0:32 offset1:98
.LBB0_12:
	s_or_b64 exec, exec, s[4:5]
	v_add_u32_e32 v1, 0, v5
	v_add_u32_e32 v29, v1, v30
	;; [unrolled: 1-line block ×5, first 2 shown]
	s_waitcnt lgkmcnt(0)
	s_barrier
	ds_read2_b32 v[7:8], v39 offset0:74 offset1:140
	ds_read2_b32 v[9:10], v14 offset0:86 offset1:152
	v_add_u32_e32 v27, v28, v5
	ds_read_b32 v1, v27
	ds_read_b32 v24, v29 offset:4488
	v_add_u32_e32 v13, 0x800, v29
	s_waitcnt lgkmcnt(2)
	v_pk_add_f16 v11, v8, v10
	v_add_u32_e32 v15, 0x200, v29
	s_waitcnt lgkmcnt(1)
	v_pk_fma_f16 v20, v11, 0.5, v1 op_sel_hi:[1,0,1] neg_lo:[1,0,0] neg_hi:[1,0,0]
	v_add_u32_e32 v25, 0xe00, v29
	ds_read2_b32 v[11:12], v13 offset0:82 offset1:148
	ds_read2_b32 v[16:17], v25 offset0:94 offset1:160
	;; [unrolled: 1-line block ×3, first 2 shown]
	s_movk_i32 s4, 0x3aee
	v_pk_add_f16 v21, v8, v10 neg_lo:[0,1] neg_hi:[0,1]
	v_pk_mul_f16 v21, v21, s4 op_sel_hi:[1,0]
	v_pk_add_f16 v26, v20, v21 op_sel:[0,1] op_sel_hi:[1,0]
	v_pk_add_f16 v31, v20, v21 op_sel:[0,1] op_sel_hi:[1,0] neg_lo:[0,1] neg_hi:[0,1]
	s_waitcnt lgkmcnt(1)
	v_pk_add_f16 v20, v11, v16
	s_waitcnt lgkmcnt(0)
	v_pk_fma_f16 v20, v20, 0.5, v18 op_sel_hi:[1,0,1] neg_lo:[1,0,0] neg_hi:[1,0,0]
	v_pk_add_f16 v21, v11, v16 neg_lo:[0,1] neg_hi:[0,1]
	v_pk_fma_f16 v32, v21, s4, v20 op_sel:[0,0,1] op_sel_hi:[1,0,0]
	v_pk_fma_f16 v33, v21, s4, v20 op_sel:[0,0,1] op_sel_hi:[1,0,0] neg_lo:[1,0,0] neg_hi:[1,0,0]
	v_lshrrev_b32_e32 v20, 16, v32
	v_mul_f16_e32 v21, 0x3aee, v33
	v_fma_f16 v34, v20, 0.5, v21
	v_mul_f16_e32 v20, 0xbaee, v20
	v_fma_f16 v35, v33, 0.5, v20
	v_add_f16_e32 v20, v26, v34
	v_add_f16_sdwa v21, v31, v35 dst_sel:DWORD dst_unused:UNUSED_PAD src0_sel:WORD_1 src1_sel:DWORD
	v_pk_add_f16 v1, v1, v8
	v_pk_add_f16 v8, v18, v11
	v_pack_b32_f16 v36, v20, v21
	v_mul_u32_u24_e32 v20, 6, v0
	v_pk_add_f16 v1, v1, v10
	v_pk_add_f16 v8, v8, v16
	v_lshl_add_u32 v37, v20, 2, v28
	v_add_u32_e32 v10, 0x600, v29
	v_pk_add_f16 v16, v1, v8
	s_mov_b32 s6, 0xffff
	ds_read2_b32 v[10:11], v10 offset0:78 offset1:144
	v_add_u32_e32 v41, 0xc00, v29
	ds_read2_b32 v[20:21], v29 offset0:66 offset1:132
	ds_read2_b32 v[22:23], v41 offset0:90 offset1:156
	s_waitcnt lgkmcnt(0)
	s_barrier
	ds_write2_b32 v37, v16, v36 offset1:1
	v_bfi_b32 v16, s6, v32, v33
	s_mov_b32 s5, 0xbaee3aee
	v_pk_mul_f16 v18, v16, 0.5 op_sel_hi:[1,0]
	v_pk_fma_f16 v16, v16, s5, v18 op_sel:[0,0,1] op_sel_hi:[1,1,0] neg_lo:[0,0,1] neg_hi:[0,0,1]
	v_pk_add_f16 v1, v1, v8 neg_lo:[0,1] neg_hi:[0,1]
	v_bfi_b32 v8, s6, v31, v26
	v_pk_add_f16 v8, v8, v16
	ds_write2_b32 v37, v8, v1 offset0:2 offset1:3
	v_sub_f16_sdwa v8, v26, v16 dst_sel:DWORD dst_unused:UNUSED_PAD src0_sel:WORD_1 src1_sel:WORD_1
	v_pack_b32_f16 v16, v35, v16
	v_sub_f16_e32 v1, v26, v34
	v_pk_add_f16 v16, v31, v16 op_sel:[1,0] op_sel_hi:[0,1] neg_lo:[0,1] neg_hi:[0,1]
	v_alignbit_b32 v8, v8, v16, 16
	v_pack_b32_f16 v1, v1, v16
	ds_write2_b32 v37, v1, v8 offset0:4 offset1:5
	v_pk_add_f16 v1, v19, v12
	v_pk_add_f16 v8, v12, v17
	v_pk_add_f16 v12, v12, v17 neg_lo:[0,1] neg_hi:[0,1]
	v_pk_add_f16 v1, v1, v17
	v_pk_add_f16 v16, v10, v22
	v_pk_add_f16 v17, v10, v22 neg_lo:[0,1] neg_hi:[0,1]
	v_pk_fma_f16 v8, v8, 0.5, v19 op_sel_hi:[1,0,1] neg_lo:[1,0,0] neg_hi:[1,0,0]
	v_pk_fma_f16 v16, v16, 0.5, v20 op_sel_hi:[1,0,1] neg_lo:[1,0,0] neg_hi:[1,0,0]
	v_pk_mul_f16 v17, v17, s4 op_sel_hi:[1,0]
	v_pk_add_f16 v18, v16, v17 op_sel:[0,1] op_sel_hi:[1,0]
	v_pk_add_f16 v16, v16, v17 op_sel:[0,1] op_sel_hi:[1,0] neg_lo:[0,1] neg_hi:[0,1]
	v_pk_fma_f16 v17, v12, s4, v8 op_sel:[0,0,1] op_sel_hi:[1,0,0]
	v_pk_fma_f16 v8, v12, s4, v8 op_sel:[0,0,1] op_sel_hi:[1,0,0] neg_lo:[1,0,0] neg_hi:[1,0,0]
	v_lshrrev_b32_e32 v12, 16, v17
	v_mul_f16_e32 v19, 0x3aee, v8
	v_fma_f16 v19, v12, 0.5, v19
	v_mul_f16_e32 v12, 0xbaee, v12
	v_fma_f16 v12, v8, 0.5, v12
	v_pk_add_f16 v10, v20, v10
	v_bfi_b32 v8, s6, v17, v8
	v_add_f16_e32 v26, v18, v19
	v_add_f16_sdwa v31, v16, v12 dst_sel:DWORD dst_unused:UNUSED_PAD src0_sel:WORD_1 src1_sel:DWORD
	v_pk_add_f16 v10, v10, v22
	v_pk_mul_f16 v17, v8, 0.5 op_sel_hi:[1,0]
	v_pack_b32_f16 v26, v26, v31
	v_mul_i32_i24_e32 v31, 6, v4
	v_pk_add_f16 v20, v10, v1
	v_pk_fma_f16 v8, v8, s5, v17 op_sel:[0,0,1] op_sel_hi:[1,1,0] neg_lo:[0,0,1] neg_hi:[0,0,1]
	v_pk_add_f16 v1, v10, v1 neg_lo:[0,1] neg_hi:[0,1]
	v_bfi_b32 v10, s6, v16, v18
	v_lshl_add_u32 v31, v31, 2, v28
	v_pk_add_f16 v10, v10, v8
	ds_write2_b32 v31, v10, v1 offset0:2 offset1:3
	v_sub_f16_sdwa v1, v18, v8 dst_sel:DWORD dst_unused:UNUSED_PAD src0_sel:WORD_1 src1_sel:WORD_1
	v_pack_b32_f16 v8, v12, v8
	v_sub_f16_e32 v10, v18, v19
	v_pk_add_f16 v16, v16, v8 op_sel:[1,0] op_sel_hi:[0,1] neg_lo:[0,1] neg_hi:[0,1]
	v_pack_b32_f16 v8, v10, v16
	v_alignbit_b32 v10, v1, v16, 16
	ds_write2_b32 v31, v8, v10 offset0:4 offset1:5
	v_pk_add_f16 v8, v21, v11
	v_pk_add_f16 v10, v11, v23
	;; [unrolled: 1-line block ×3, first 2 shown]
	v_pk_fma_f16 v8, v10, 0.5, v21 op_sel_hi:[1,0,1] neg_lo:[1,0,0] neg_hi:[1,0,0]
	v_pk_add_f16 v10, v9, v24
	v_pk_add_f16 v11, v11, v23 neg_lo:[0,1] neg_hi:[0,1]
	v_pk_fma_f16 v10, v10, 0.5, v7 op_sel_hi:[1,0,1] neg_lo:[1,0,0] neg_hi:[1,0,0]
	v_pk_add_f16 v7, v7, v9
	v_pk_add_f16 v9, v9, v24 neg_lo:[0,1] neg_hi:[0,1]
	v_pk_add_f16 v18, v7, v24
	v_pk_mul_f16 v7, v11, s4 op_sel_hi:[1,0]
	v_pk_add_f16 v11, v8, v7 op_sel:[0,1] op_sel_hi:[1,0] neg_lo:[0,1] neg_hi:[0,1]
	v_pk_add_f16 v12, v8, v7 op_sel:[0,1] op_sel_hi:[1,0]
	v_pk_fma_f16 v7, v9, s4, v10 op_sel:[0,0,1] op_sel_hi:[1,0,0] neg_lo:[1,0,0] neg_hi:[1,0,0]
	v_pk_fma_f16 v8, v9, s4, v10 op_sel:[0,0,1] op_sel_hi:[1,0,0]
	v_mov_b32_e32 v9, 0x3800
	v_mul_f16_sdwa v9, v7, v9 dst_sel:DWORD dst_unused:UNUSED_PAD src0_sel:WORD_1 src1_sel:DWORD
	v_fma_f16 v9, v8, s4, -v9
	s_mov_b32 s4, 0xbaee
	v_mul_f16_sdwa v10, v8, s4 dst_sel:DWORD dst_unused:UNUSED_PAD src0_sel:WORD_1 src1_sel:DWORD
	v_pk_mul_f16 v8, v8, 0.5 op_sel_hi:[1,0]
	v_fma_f16 v19, v7, 0.5, v10
	v_pk_fma_f16 v10, v7, s5, v8 op_sel:[0,0,1] op_sel_hi:[1,1,0]
	v_pk_fma_f16 v7, v7, s5, v8 op_sel:[0,0,1] op_sel_hi:[1,1,0] neg_lo:[0,0,1] neg_hi:[0,0,1]
	ds_write2_b32 v31, v20, v26 offset1:1
	v_bfi_b32 v20, s6, v10, v7
	v_bfi_b32 v7, s6, v9, v7
	;; [unrolled: 1-line block ×3, first 2 shown]
	v_pk_add_f16 v8, v8, v7 neg_lo:[0,1] neg_hi:[0,1]
	v_sub_f16_e32 v7, v12, v10
	v_pk_add_f16 v10, v12, v20
	v_add_f16_sdwa v33, v11, v19 dst_sel:DWORD dst_unused:UNUSED_PAD src0_sel:WORD_1 src1_sel:DWORD
	v_sub_f16_sdwa v34, v11, v19 dst_sel:DWORD dst_unused:UNUSED_PAD src0_sel:WORD_1 src1_sel:DWORD
	v_add_f16_e32 v11, v11, v9
	v_pk_add_f16 v12, v17, v18 neg_lo:[0,1] neg_hi:[0,1]
	v_pk_add_f16 v9, v17, v18
	v_mul_i32_i24_e32 v17, 6, v6
	v_lshl_add_u32 v17, v17, 2, v28
	v_pack_b32_f16 v18, v10, v33
	ds_write2_b32 v17, v9, v18 offset1:1
	v_bfi_b32 v18, s6, v11, v10
	ds_write2_b32 v17, v18, v12 offset0:2 offset1:3
	v_pack_b32_f16 v18, v7, v34
	ds_write2_b32 v17, v18, v8 offset0:4 offset1:5
	s_waitcnt lgkmcnt(0)
	s_barrier
	ds_read_b32 v40, v27
	ds_read2_b32 v[19:20], v14 offset0:116 offset1:224
	ds_read2_b32 v[17:18], v25 offset0:76 offset1:184
	;; [unrolled: 1-line block ×5, first 2 shown]
	v_lshrrev_b32_e32 v32, 16, v16
	v_cmp_gt_u32_e32 vcc, 42, v0
	v_lshlrev_b32_e32 v31, 2, v4
                                        ; implicit-def: $vgpr38
                                        ; implicit-def: $vgpr37
                                        ; implicit-def: $vgpr36
                                        ; implicit-def: $vgpr35
                                        ; implicit-def: $vgpr16
                                        ; implicit-def: $vgpr14
	s_and_saveexec_b64 s[4:5], vcc
	s_cbranch_execz .LBB0_14
; %bb.13:
	v_add_u32_e32 v11, 0x1000, v29
	v_add3_u32 v1, 0, v31, v30
	ds_read2_b32 v[9:10], v15 offset0:46 offset1:154
	ds_read_b32 v32, v1
	ds_read2_b32 v[7:8], v13 offset0:94 offset1:202
	ds_read2_b32 v[13:14], v41 offset0:54 offset1:162
	;; [unrolled: 1-line block ×4, first 2 shown]
	s_waitcnt lgkmcnt(5)
	v_lshrrev_b32_e32 v33, 16, v10
	s_waitcnt lgkmcnt(4)
	v_lshrrev_b32_e32 v1, 16, v32
	;; [unrolled: 2-line block ×4, first 2 shown]
	v_lshrrev_b32_e32 v36, 16, v14
	s_waitcnt lgkmcnt(1)
	v_lshrrev_b32_e32 v37, 16, v15
	v_lshrrev_b32_e32 v38, 16, v16
	s_waitcnt lgkmcnt(0)
	v_bfi_b32 v10, s6, v10, v11
.LBB0_14:
	s_or_b64 exec, exec, s[4:5]
	s_movk_i32 s13, 0xab
	v_mul_lo_u16_sdwa v39, v0, s13 dst_sel:DWORD dst_unused:UNUSED_PAD src0_sel:BYTE_0 src1_sel:DWORD
	v_lshrrev_b16_e32 v51, 10, v39
	v_mul_lo_u16_e32 v39, 6, v51
	v_sub_u16_e32 v52, v0, v39
	v_mov_b32_e32 v39, 10
	v_mul_u32_u24_sdwa v41, v52, v39 dst_sel:DWORD dst_unused:UNUSED_PAD src0_sel:BYTE_0 src1_sel:DWORD
	v_lshlrev_b32_e32 v53, 2, v41
	global_load_dwordx4 v[41:44], v53, s[8:9]
	global_load_dwordx4 v[45:48], v53, s[8:9] offset:16
	global_load_dwordx2 v[49:50], v53, s[8:9] offset:32
	s_waitcnt lgkmcnt(2)
	v_lshrrev_b32_e32 v55, 16, v25
	v_lshrrev_b32_e32 v53, 16, v17
	;; [unrolled: 1-line block ×4, first 2 shown]
	s_waitcnt lgkmcnt(0)
	v_lshrrev_b32_e32 v59, 16, v21
	v_lshrrev_b32_e32 v60, 16, v22
	;; [unrolled: 1-line block ×6, first 2 shown]
	s_movk_i32 s6, 0x3abb
	s_movk_i32 s7, 0x36a6
	s_mov_b32 s10, 0xb08e
	s_mov_b32 s11, 0xb93d
	;; [unrolled: 1-line block ×3, first 2 shown]
	s_movk_i32 s14, 0x108
	s_waitcnt vmcnt(0)
	s_barrier
	s_mov_b32 s20, 0xb853
	s_mov_b32 s19, 0xbb47
	;; [unrolled: 1-line block ×5, first 2 shown]
	s_movk_i32 s22, 0x3482
	s_movk_i32 s21, 0x3beb
	;; [unrolled: 1-line block ×4, first 2 shown]
	v_mul_f16_sdwa v63, v41, v55 dst_sel:DWORD dst_unused:UNUSED_PAD src0_sel:WORD_1 src1_sel:DWORD
	v_mul_f16_sdwa v64, v41, v25 dst_sel:DWORD dst_unused:UNUSED_PAD src0_sel:WORD_1 src1_sel:DWORD
	;; [unrolled: 1-line block ×11, first 2 shown]
	v_mul_f16_sdwa v79, v53, v49 dst_sel:DWORD dst_unused:UNUSED_PAD src0_sel:DWORD src1_sel:WORD_1
	v_mul_f16_sdwa v80, v17, v49 dst_sel:DWORD dst_unused:UNUSED_PAD src0_sel:DWORD src1_sel:WORD_1
	;; [unrolled: 1-line block ×4, first 2 shown]
	v_fma_f16 v25, v41, v25, -v63
	v_mul_f16_sdwa v66, v42, v26 dst_sel:DWORD dst_unused:UNUSED_PAD src0_sel:WORD_1 src1_sel:DWORD
	v_mul_f16_sdwa v67, v43, v57 dst_sel:DWORD dst_unused:UNUSED_PAD src0_sel:WORD_1 src1_sel:DWORD
	v_fma_f16 v26, v42, v26, -v65
	v_fma_f16 v41, v41, v55, v64
	v_fma_f16 v55, v45, v59, v72
	v_fma_f16 v21, v45, v21, -v71
	v_fma_f16 v22, v46, v22, -v73
	v_fma_f16 v45, v46, v60, v74
	v_fma_f16 v19, v47, v19, -v75
	v_fma_f16 v46, v47, v61, v76
	;; [unrolled: 2-line block ×5, first 2 shown]
	v_add_f16_e32 v50, v25, v40
	v_mul_f16_sdwa v68, v43, v23 dst_sel:DWORD dst_unused:UNUSED_PAD src0_sel:WORD_1 src1_sel:DWORD
	v_mul_f16_sdwa v69, v44, v58 dst_sel:DWORD dst_unused:UNUSED_PAD src0_sel:WORD_1 src1_sel:DWORD
	v_fma_f16 v23, v43, v23, -v67
	v_fma_f16 v42, v42, v56, v66
	v_add_f16_sdwa v53, v41, v40 dst_sel:DWORD dst_unused:UNUSED_PAD src0_sel:DWORD src1_sel:WORD_1
	v_add_f16_e32 v50, v50, v26
	v_mul_f16_sdwa v70, v44, v24 dst_sel:DWORD dst_unused:UNUSED_PAD src0_sel:WORD_1 src1_sel:DWORD
	v_fma_f16 v24, v44, v24, -v69
	v_fma_f16 v43, v43, v57, v68
	v_add_f16_e32 v53, v53, v42
	v_add_f16_e32 v50, v50, v23
	v_fma_f16 v44, v44, v58, v70
	v_add_f16_e32 v53, v53, v43
	v_add_f16_e32 v50, v50, v24
	;; [unrolled: 1-line block ×11, first 2 shown]
	v_sub_f16_e32 v41, v41, v49
	v_add_f16_e32 v53, v53, v47
	v_add_f16_e32 v50, v50, v17
	;; [unrolled: 1-line block ×3, first 2 shown]
	v_sub_f16_e32 v25, v25, v18
	v_mul_f16_e32 v57, 0xb853, v41
	v_mul_f16_e32 v59, 0xbb47, v41
	v_add_f16_e32 v53, v53, v48
	v_add_f16_e32 v50, v50, v18
	v_mul_f16_e32 v18, 0xbbeb, v41
	v_mul_f16_e32 v67, 0xba0c, v41
	;; [unrolled: 1-line block ×5, first 2 shown]
	v_fma_f16 v61, v54, s6, -v57
	v_fma_f16 v57, v54, s6, v57
	v_fma_f16 v63, v54, s7, -v59
	v_fma_f16 v59, v54, s7, v59
	v_add_f16_e32 v49, v53, v49
	v_fma_f16 v53, v54, s10, -v18
	v_mul_f16_e32 v65, 0xbbeb, v25
	v_fma_f16 v18, v54, s10, v18
	v_fma_f16 v68, v54, s11, -v67
	v_fma_f16 v67, v54, s11, v67
	v_fma_f16 v69, v54, s12, -v41
	v_fma_f16 v41, v54, s12, v41
	v_mul_f16_e32 v54, 0xba0c, v25
	v_mul_f16_e32 v25, 0xb482, v25
	v_fma_f16 v62, v56, s6, v58
	v_fma_f16 v58, v56, s6, -v58
	v_fma_f16 v64, v56, s7, v60
	v_fma_f16 v60, v56, s7, -v60
	;; [unrolled: 2-line block ×5, first 2 shown]
	v_add_f16_e32 v56, v61, v40
	v_add_f16_sdwa v61, v62, v40 dst_sel:DWORD dst_unused:UNUSED_PAD src0_sel:DWORD src1_sel:WORD_1
	v_add_f16_e32 v57, v57, v40
	v_add_f16_sdwa v58, v58, v40 dst_sel:DWORD dst_unused:UNUSED_PAD src0_sel:DWORD src1_sel:WORD_1
	;; [unrolled: 2-line block ×10, first 2 shown]
	v_add_f16_e32 v40, v26, v17
	v_sub_f16_e32 v17, v26, v17
	v_add_f16_e32 v26, v42, v48
	v_sub_f16_e32 v42, v42, v48
	v_mul_f16_e32 v48, 0xbb47, v42
	v_fma_f16 v71, v40, s7, -v48
	v_add_f16_e32 v56, v71, v56
	v_mul_f16_e32 v71, 0xbb47, v17
	v_fma_f16 v48, v40, s7, v48
	v_add_f16_e32 v48, v48, v57
	v_fma_f16 v57, v26, s7, -v71
	v_add_f16_e32 v57, v57, v58
	v_mul_f16_e32 v58, 0xba0c, v42
	v_fma_f16 v72, v26, s7, v71
	v_fma_f16 v71, v40, s11, -v58
	v_add_f16_e32 v62, v71, v62
	v_mul_f16_e32 v71, 0xba0c, v17
	v_fma_f16 v58, v40, s11, v58
	v_add_f16_e32 v58, v58, v59
	v_fma_f16 v59, v26, s11, -v71
	v_add_f16_e32 v59, v59, v60
	v_mul_f16_e32 v60, 0x3482, v42
	v_add_f16_e32 v61, v72, v61
	v_fma_f16 v72, v26, s11, v71
	v_fma_f16 v71, v40, s12, -v60
	v_add_f16_e32 v53, v71, v53
	v_mul_f16_e32 v71, 0x3482, v17
	v_fma_f16 v60, v40, s12, v60
	v_add_f16_e32 v18, v60, v18
	v_fma_f16 v60, v26, s12, -v71
	v_add_f16_e32 v60, v60, v65
	v_mul_f16_e32 v65, 0x3beb, v42
	v_add_f16_e32 v63, v72, v63
	v_fma_f16 v72, v26, s12, v71
	v_fma_f16 v71, v40, s10, -v65
	v_add_f16_e32 v66, v71, v66
	v_mul_f16_e32 v71, 0x3beb, v17
	v_fma_f16 v65, v40, s10, v65
	v_add_f16_e32 v65, v65, v67
	v_fma_f16 v67, v26, s10, -v71
	v_mul_f16_e32 v42, 0x3853, v42
	v_add_f16_e32 v54, v67, v54
	v_fma_f16 v67, v40, s6, -v42
	v_mul_f16_e32 v17, 0x3853, v17
	v_add_f16_e32 v67, v67, v69
	v_fma_f16 v69, v26, s6, v17
	v_fma_f16 v17, v26, s6, -v17
	v_fma_f16 v40, v40, s6, v42
	v_add_f16_e32 v17, v17, v25
	v_add_f16_e32 v25, v23, v20
	v_sub_f16_e32 v20, v23, v20
	v_sub_f16_e32 v23, v43, v47
	v_add_f16_e32 v40, v40, v41
	v_mul_f16_e32 v41, 0xbbeb, v23
	v_add_f16_e32 v64, v72, v64
	v_fma_f16 v72, v26, s10, v71
	v_add_f16_e32 v26, v43, v47
	v_fma_f16 v42, v25, s10, -v41
	v_mul_f16_e32 v43, 0xbbeb, v20
	v_fma_f16 v41, v25, s10, v41
	v_fma_f16 v47, v26, s10, v43
	v_add_f16_e32 v41, v41, v48
	v_fma_f16 v43, v26, s10, -v43
	v_mul_f16_e32 v48, 0x3482, v23
	v_add_f16_e32 v42, v42, v56
	v_add_f16_e32 v43, v43, v57
	v_fma_f16 v56, v25, s12, -v48
	v_mul_f16_e32 v57, 0x3482, v20
	v_fma_f16 v48, v25, s12, v48
	v_add_f16_e32 v47, v47, v61
	v_fma_f16 v61, v26, s12, v57
	v_add_f16_e32 v48, v48, v58
	v_fma_f16 v57, v26, s12, -v57
	v_mul_f16_e32 v58, 0x3b47, v23
	v_add_f16_e32 v57, v57, v59
	v_fma_f16 v59, v25, s7, -v58
	v_add_f16_e32 v53, v59, v53
	v_mul_f16_e32 v59, 0x3b47, v20
	v_fma_f16 v58, v25, s7, v58
	v_add_f16_e32 v56, v56, v62
	v_fma_f16 v62, v26, s7, v59
	v_add_f16_e32 v18, v58, v18
	v_fma_f16 v58, v26, s7, -v59
	v_mul_f16_e32 v59, 0xb853, v23
	v_add_f16_e32 v61, v61, v63
	v_add_f16_e32 v58, v58, v60
	v_fma_f16 v60, v25, s6, -v59
	v_mul_f16_e32 v63, 0xb853, v20
	v_fma_f16 v59, v25, s6, v59
	v_mul_f16_e32 v20, 0xba0c, v20
	v_add_f16_e32 v59, v59, v65
	v_fma_f16 v65, v26, s11, v20
	v_fma_f16 v20, v26, s11, -v20
	v_add_f16_e32 v62, v62, v64
	v_fma_f16 v64, v26, s6, v63
	v_fma_f16 v63, v26, s6, -v63
	v_mul_f16_e32 v23, 0xba0c, v23
	v_add_f16_e32 v17, v20, v17
	v_add_f16_e32 v20, v24, v19
	v_sub_f16_e32 v19, v24, v19
	v_sub_f16_e32 v24, v44, v46
	v_add_f16_e32 v54, v63, v54
	v_fma_f16 v63, v25, s11, -v23
	v_fma_f16 v23, v25, s11, v23
	v_mul_f16_e32 v26, 0xba0c, v24
	v_add_f16_e32 v23, v23, v40
	v_fma_f16 v40, v20, s11, -v26
	v_add_f16_e32 v25, v44, v46
	v_add_f16_e32 v40, v40, v42
	v_mul_f16_e32 v42, 0xba0c, v19
	v_fma_f16 v26, v20, s11, v26
	v_fma_f16 v44, v25, s11, v42
	v_add_f16_e32 v26, v26, v41
	v_fma_f16 v41, v25, s11, -v42
	v_mul_f16_e32 v42, 0x3beb, v24
	v_add_f16_e32 v41, v41, v43
	v_fma_f16 v43, v20, s10, -v42
	v_fma_f16 v42, v20, s10, v42
	v_add_f16_e32 v42, v42, v48
	v_mul_f16_e32 v48, 0xb853, v24
	v_add_f16_e32 v43, v43, v56
	v_mul_f16_e32 v46, 0x3beb, v19
	v_fma_f16 v56, v20, s6, -v48
	v_add_f16_e32 v44, v44, v47
	v_fma_f16 v47, v25, s10, v46
	v_fma_f16 v46, v25, s10, -v46
	v_add_f16_e32 v53, v56, v53
	v_mul_f16_e32 v56, 0xb853, v19
	v_fma_f16 v48, v20, s6, v48
	v_add_f16_e32 v46, v46, v57
	v_fma_f16 v57, v25, s6, v56
	v_add_f16_e32 v18, v48, v18
	v_fma_f16 v48, v25, s6, -v56
	v_mul_f16_e32 v56, 0xb482, v24
	v_add_f16_e32 v60, v60, v66
	v_add_f16_e32 v48, v48, v58
	v_fma_f16 v58, v20, s12, -v56
	v_add_f16_e32 v58, v58, v60
	v_mul_f16_e32 v60, 0xb482, v19
	v_fma_f16 v56, v20, s12, v56
	v_mul_f16_e32 v19, 0x3b47, v19
	v_add_f16_e32 v47, v47, v61
	v_fma_f16 v61, v25, s12, v60
	v_add_f16_e32 v56, v56, v59
	v_fma_f16 v59, v25, s12, -v60
	v_fma_f16 v60, v25, s7, v19
	v_fma_f16 v19, v25, s7, -v19
	v_mul_f16_e32 v24, 0x3b47, v24
	v_add_f16_e32 v17, v19, v17
	v_add_f16_e32 v19, v21, v22
	v_sub_f16_e32 v21, v21, v22
	v_sub_f16_e32 v22, v55, v45
	v_add_f16_e32 v54, v59, v54
	v_fma_f16 v59, v20, s7, -v24
	v_fma_f16 v20, v20, s7, v24
	v_mul_f16_e32 v24, 0xb482, v22
	v_fma_f16 v25, v19, s12, -v24
	v_add_f16_e32 v20, v20, v23
	v_add_f16_e32 v23, v55, v45
	;; [unrolled: 1-line block ×3, first 2 shown]
	v_mul_f16_e32 v40, 0xb482, v21
	v_fma_f16 v24, v19, s12, v24
	v_fma_f16 v45, v23, s12, v40
	v_add_f16_e32 v24, v24, v26
	v_fma_f16 v26, v23, s12, -v40
	v_mul_f16_e32 v40, 0x3853, v22
	v_add_f16_e32 v26, v26, v41
	v_fma_f16 v41, v19, s6, -v40
	v_add_f16_e32 v41, v41, v43
	v_mul_f16_e32 v43, 0x3853, v21
	v_fma_f16 v40, v19, s6, v40
	v_add_f16_e32 v44, v45, v44
	v_fma_f16 v45, v23, s6, v43
	v_add_f16_e32 v40, v40, v42
	v_fma_f16 v42, v23, s6, -v43
	v_mul_f16_e32 v43, 0xba0c, v22
	v_add_f16_e32 v45, v45, v47
	v_add_f16_e32 v42, v42, v46
	v_fma_f16 v46, v19, s11, -v43
	v_mul_f16_e32 v47, 0xba0c, v21
	v_fma_f16 v43, v19, s11, v43
	v_add_f16_e32 v43, v43, v18
	v_fma_f16 v18, v23, s11, -v47
	v_add_f16_e32 v46, v46, v53
	v_fma_f16 v53, v23, s11, v47
	v_add_f16_e32 v47, v18, v48
	v_mul_f16_e32 v18, 0x3b47, v22
	v_fma_f16 v48, v19, s7, -v18
	v_mul_f16_e32 v55, 0x3b47, v21
	v_fma_f16 v18, v19, s7, v18
	v_add_f16_e32 v56, v18, v56
	v_fma_f16 v18, v23, s7, -v55
	v_add_f16_e32 v54, v18, v54
	v_mul_f16_e32 v18, 0xbbeb, v22
	v_fma_f16 v22, v19, s10, -v18
	v_mul_f16_e32 v21, 0xbbeb, v21
	v_fma_f16 v18, v19, s10, v18
	v_add_f16_e32 v19, v18, v20
	v_fma_f16 v18, v23, s10, -v21
	v_add_f16_e32 v68, v72, v68
	v_add_f16_e32 v69, v69, v70
	;; [unrolled: 1-line block ×4, first 2 shown]
	v_mov_b32_e32 v18, 2
	v_add_f16_e32 v64, v64, v68
	v_add_f16_e32 v63, v63, v67
	;; [unrolled: 1-line block ×4, first 2 shown]
	v_fma_f16 v57, v23, s7, v55
	v_fma_f16 v55, v23, s10, v21
	v_mad_u32_u24 v20, v51, s14, 0
	v_lshlrev_b32_sdwa v21, v18, v52 dst_sel:DWORD dst_unused:UNUSED_PAD src0_sel:DWORD src1_sel:BYTE_0
	v_add_f16_e32 v61, v61, v64
	v_add_f16_e32 v59, v59, v63
	;; [unrolled: 1-line block ×3, first 2 shown]
	v_add3_u32 v20, v20, v21, v30
	v_pack_b32_f16 v21, v50, v49
	v_pack_b32_f16 v23, v25, v44
	;; [unrolled: 1-line block ×4, first 2 shown]
	v_add_f16_e32 v48, v48, v58
	v_add_f16_e32 v57, v57, v61
	;; [unrolled: 1-line block ×4, first 2 shown]
	ds_write2_b32 v20, v21, v23 offset1:6
	v_pack_b32_f16 v21, v41, v45
	v_pack_b32_f16 v23, v46, v53
	ds_write2_b32 v20, v17, v19 offset0:36 offset1:42
	v_pack_b32_f16 v17, v43, v47
	v_pack_b32_f16 v19, v40, v42
	ds_write2_b32 v20, v21, v23 offset0:12 offset1:18
	;; [unrolled: 3-line block ×3, first 2 shown]
	v_pack_b32_f16 v17, v24, v26
	ds_write2_b32 v20, v21, v22 offset0:24 offset1:30
	ds_write_b32 v20, v17 offset:240
	s_and_saveexec_b64 s[4:5], vcc
	s_cbranch_execz .LBB0_16
; %bb.15:
	v_mul_lo_u16_sdwa v17, v4, s13 dst_sel:DWORD dst_unused:UNUSED_PAD src0_sel:BYTE_0 src1_sel:DWORD
	v_lshrrev_b16_e32 v17, 10, v17
	v_mul_lo_u16_e32 v19, 6, v17
	v_sub_u16_e32 v41, v4, v19
	v_mul_u32_u24_sdwa v19, v41, v39 dst_sel:DWORD dst_unused:UNUSED_PAD src0_sel:BYTE_0 src1_sel:DWORD
	v_lshlrev_b32_e32 v42, 2, v19
	global_load_dwordx2 v[39:40], v42, s[8:9] offset:32
	global_load_dwordx4 v[19:22], v42, s[8:9]
	global_load_dwordx4 v[23:26], v42, s[8:9] offset:16
	v_lshrrev_b32_e32 v42, 16, v9
	v_lshrrev_b32_e32 v43, 16, v10
	;; [unrolled: 1-line block ×4, first 2 shown]
	s_movk_i32 s13, 0x3a0c
	s_waitcnt vmcnt(2)
	v_mul_f16_sdwa v46, v16, v40 dst_sel:DWORD dst_unused:UNUSED_PAD src0_sel:DWORD src1_sel:WORD_1
	s_waitcnt vmcnt(1)
	v_mul_f16_sdwa v47, v9, v19 dst_sel:DWORD dst_unused:UNUSED_PAD src0_sel:DWORD src1_sel:WORD_1
	v_mul_f16_sdwa v48, v42, v19 dst_sel:DWORD dst_unused:UNUSED_PAD src0_sel:DWORD src1_sel:WORD_1
	;; [unrolled: 1-line block ×6, first 2 shown]
	s_waitcnt vmcnt(0)
	v_mul_f16_sdwa v54, v14, v26 dst_sel:DWORD dst_unused:UNUSED_PAD src0_sel:DWORD src1_sel:WORD_1
	v_mul_f16_sdwa v55, v11, v21 dst_sel:DWORD dst_unused:UNUSED_PAD src0_sel:DWORD src1_sel:WORD_1
	;; [unrolled: 1-line block ×7, first 2 shown]
	v_fma_f16 v38, v38, v40, v46
	v_fma_f16 v42, v42, v19, v47
	v_mul_f16_sdwa v53, v37, v39 dst_sel:DWORD dst_unused:UNUSED_PAD src0_sel:DWORD src1_sel:WORD_1
	v_mul_f16_sdwa v57, v36, v26 dst_sel:DWORD dst_unused:UNUSED_PAD src0_sel:DWORD src1_sel:WORD_1
	;; [unrolled: 1-line block ×6, first 2 shown]
	v_fma_f16 v9, v9, v19, -v48
	v_fma_f16 v16, v16, v40, -v49
	v_fma_f16 v19, v37, v39, v50
	v_fma_f16 v33, v33, v20, v51
	v_fma_f16 v10, v10, v20, -v52
	v_fma_f16 v20, v36, v26, v54
	v_fma_f16 v36, v43, v21, v55
	v_fma_f16 v11, v11, v21, -v56
	v_fma_f16 v21, v35, v25, v58
	v_fma_f16 v13, v13, v25, -v61
	;; [unrolled: 2-line block ×3, first 2 shown]
	v_add_f16_e32 v23, v42, v38
	v_fma_f16 v15, v15, v39, -v53
	v_fma_f16 v14, v14, v26, -v57
	v_fma_f16 v26, v44, v22, v59
	v_fma_f16 v12, v12, v22, -v60
	v_fma_f16 v22, v45, v24, v62
	v_fma_f16 v8, v8, v24, -v65
	v_sub_f16_e32 v24, v9, v16
	v_add_f16_e32 v34, v33, v19
	v_mul_f16_e32 v54, 0xbbad, v23
	v_sub_f16_e32 v35, v10, v15
	v_add_f16_e32 v37, v36, v20
	v_mul_f16_e32 v55, 0x3abb, v34
	v_fma_f16 v62, v24, s22, v54
	v_fma_f16 v54, v24, s17, v54
	v_sub_f16_e32 v39, v11, v14
	v_add_f16_e32 v40, v26, v21
	v_mul_f16_e32 v56, 0xb93d, v37
	v_fma_f16 v63, v35, s20, v55
	v_add_f16_e32 v54, v1, v54
	v_fma_f16 v55, v35, s18, v55
	v_sub_f16_e32 v43, v12, v13
	v_add_f16_e32 v44, v25, v22
	v_sub_f16_e32 v47, v42, v38
	v_mul_f16_e32 v57, 0x36a6, v40
	v_add_f16_e32 v54, v55, v54
	v_fma_f16 v55, v39, s16, v56
	v_sub_f16_e32 v45, v7, v8
	v_add_f16_e32 v46, v9, v16
	v_sub_f16_e32 v49, v33, v19
	v_mul_f16_e32 v58, 0xb08e, v44
	v_mul_f16_e32 v59, 0xb482, v47
	v_add_f16_e32 v62, v1, v62
	v_add_f16_e32 v54, v55, v54
	v_fma_f16 v55, v43, s23, v57
	v_add_f16_e32 v48, v10, v15
	v_sub_f16_e32 v51, v36, v20
	v_mul_f16_e32 v60, 0x3853, v49
	v_fma_f16 v64, v39, s13, v56
	v_fma_f16 v67, v46, s12, v59
	v_add_f16_e32 v62, v63, v62
	v_add_f16_e32 v54, v55, v54
	v_fma_f16 v55, v45, s15, v58
	v_add_f16_e32 v50, v11, v14
	v_sub_f16_e32 v53, v26, v21
	v_mul_f16_e32 v61, 0xba0c, v51
	v_fma_f16 v65, v43, s19, v57
	v_fma_f16 v68, v48, s6, v60
	v_add_f16_e32 v67, v32, v67
	v_add_f16_e32 v62, v64, v62
	;; [unrolled: 1-line block ×3, first 2 shown]
	v_fma_f16 v55, v46, s12, -v59
	v_add_f16_e32 v52, v12, v13
	v_fma_f16 v66, v45, s21, v58
	v_fma_f16 v69, v50, s11, v61
	v_add_f16_e32 v63, v68, v67
	v_add_f16_e32 v62, v65, v62
	v_mul_f16_e32 v64, 0x3b47, v53
	v_add_f16_e32 v55, v32, v55
	v_fma_f16 v56, v48, s6, -v60
	v_add_f16_e32 v63, v69, v63
	v_add_f16_e32 v62, v66, v62
	v_fma_f16 v65, v52, s7, v64
	v_sub_f16_e32 v66, v25, v22
	v_add_f16_e32 v55, v56, v55
	v_fma_f16 v56, v50, s11, -v61
	v_add_f16_e32 v63, v65, v63
	v_add_f16_e32 v65, v7, v8
	v_mul_f16_e32 v67, 0xbbeb, v66
	v_add_f16_e32 v55, v56, v55
	v_fma_f16 v56, v52, s7, -v64
	v_add_f16_e32 v55, v56, v55
	v_fma_f16 v56, v65, s10, -v67
	v_add_f16_e32 v55, v56, v55
	v_mul_f16_e32 v56, 0xba0c, v24
	v_fma_f16 v57, v23, s11, v56
	v_mul_f16_e32 v58, 0x3beb, v35
	v_add_f16_e32 v57, v1, v57
	v_fma_f16 v59, v34, s10, v58
	v_add_f16_e32 v57, v59, v57
	v_mul_f16_e32 v59, 0xb853, v39
	v_fma_f16 v60, v37, s6, v59
	v_add_f16_e32 v57, v60, v57
	v_mul_f16_e32 v60, 0xb482, v43
	;; [unrolled: 3-line block ×3, first 2 shown]
	v_fma_f16 v64, v44, s7, v61
	v_fma_f16 v68, v65, s10, v67
	v_add_f16_e32 v57, v64, v57
	v_mul_f16_e32 v64, 0xba0c, v47
	v_add_f16_e32 v63, v68, v63
	v_fma_f16 v67, v46, s11, -v64
	v_mul_f16_e32 v68, 0x3beb, v49
	v_add_f16_e32 v67, v32, v67
	v_fma_f16 v69, v48, s10, -v68
	v_add_f16_e32 v67, v69, v67
	v_mul_f16_e32 v69, 0xb853, v51
	v_fma_f16 v70, v50, s6, -v69
	v_add_f16_e32 v67, v70, v67
	v_mul_f16_e32 v70, 0xb482, v53
	;; [unrolled: 3-line block ×4, first 2 shown]
	v_fma_f16 v73, v23, s10, v72
	v_mul_f16_e32 v74, 0x3482, v35
	v_add_f16_e32 v73, v1, v73
	v_fma_f16 v75, v34, s12, v74
	v_add_f16_e32 v9, v32, v9
	v_add_f16_e32 v73, v75, v73
	v_mul_f16_e32 v75, 0x3b47, v39
	v_add_f16_e32 v9, v9, v10
	v_fma_f16 v76, v37, s7, v75
	v_add_f16_e32 v9, v9, v11
	v_add_f16_e32 v73, v76, v73
	v_mul_f16_e32 v76, 0xb853, v43
	v_add_f16_e32 v9, v9, v12
	v_fma_f16 v77, v40, s6, v76
	v_add_f16_e32 v7, v9, v7
	v_fma_f16 v9, v23, s11, -v56
	v_add_f16_e32 v73, v77, v73
	v_mul_f16_e32 v77, 0xba0c, v45
	v_add_f16_e32 v9, v1, v9
	v_fma_f16 v10, v34, s10, -v58
	v_fma_f16 v78, v44, s11, v77
	v_add_f16_e32 v9, v10, v9
	v_fma_f16 v10, v37, s6, -v59
	v_add_f16_e32 v73, v78, v73
	v_mul_f16_e32 v78, 0xbbeb, v47
	v_add_f16_e32 v9, v10, v9
	v_fma_f16 v10, v40, s12, -v60
	v_fma_f16 v79, v46, s10, -v78
	v_mul_f16_e32 v80, 0x3482, v49
	v_add_f16_e32 v9, v10, v9
	v_fma_f16 v10, v44, s7, -v61
	v_add_f16_e32 v79, v32, v79
	v_fma_f16 v81, v48, s12, -v80
	v_add_f16_e32 v9, v10, v9
	v_fma_f16 v10, v46, s11, v64
	v_add_f16_e32 v79, v81, v79
	v_mul_f16_e32 v81, 0x3b47, v51
	v_add_f16_e32 v10, v32, v10
	v_fma_f16 v11, v48, s10, v68
	v_fma_f16 v82, v50, s7, -v81
	v_add_f16_e32 v10, v11, v10
	v_fma_f16 v11, v50, s6, v69
	v_add_f16_e32 v79, v82, v79
	v_mul_f16_e32 v82, 0xb853, v53
	v_add_f16_e32 v10, v11, v10
	v_fma_f16 v11, v52, s12, v70
	v_fma_f16 v83, v52, s6, -v82
	v_add_f16_e32 v10, v11, v10
	v_fma_f16 v11, v65, s7, v71
	v_add_f16_e32 v79, v83, v79
	v_mul_f16_e32 v83, 0xba0c, v66
	v_add_f16_e32 v10, v11, v10
	v_fma_f16 v11, v23, s10, -v72
	v_fma_f16 v84, v65, s11, -v83
	v_add_f16_e32 v11, v1, v11
	v_fma_f16 v12, v34, s12, -v74
	v_add_f16_e32 v79, v84, v79
	v_mul_f16_e32 v84, 0xbb47, v24
	v_add_f16_e32 v11, v12, v11
	v_fma_f16 v12, v37, s7, -v75
	v_fma_f16 v85, v23, s7, v84
	v_mul_f16_e32 v86, 0xba0c, v35
	v_add_f16_e32 v11, v12, v11
	v_fma_f16 v12, v40, s6, -v76
	v_add_f16_e32 v85, v1, v85
	v_fma_f16 v87, v34, s11, v86
	v_add_f16_e32 v11, v12, v11
	v_fma_f16 v12, v44, s11, -v77
	v_add_f16_e32 v85, v87, v85
	v_mul_f16_e32 v87, 0x3482, v39
	v_add_f16_e32 v7, v7, v8
	v_add_f16_e32 v11, v12, v11
	v_fma_f16 v12, v46, s10, v78
	v_fma_f16 v88, v37, s12, v87
	v_add_f16_e32 v7, v7, v13
	v_add_f16_e32 v12, v32, v12
	v_fma_f16 v13, v48, s12, v80
	v_add_f16_e32 v85, v88, v85
	v_mul_f16_e32 v88, 0x3beb, v43
	v_add_f16_e32 v12, v13, v12
	v_fma_f16 v13, v50, s7, v81
	v_fma_f16 v89, v40, s10, v88
	v_add_f16_e32 v12, v13, v12
	v_fma_f16 v13, v52, s6, v82
	v_add_f16_e32 v85, v89, v85
	v_mul_f16_e32 v89, 0x3853, v45
	v_add_f16_e32 v12, v13, v12
	v_fma_f16 v13, v65, s11, v83
	v_fma_f16 v90, v44, s6, v89
	v_add_f16_e32 v12, v13, v12
	v_fma_f16 v13, v23, s7, -v84
	v_add_f16_e32 v85, v90, v85
	v_mul_f16_e32 v90, 0xbb47, v47
	v_add_f16_e32 v7, v7, v14
	v_add_f16_e32 v13, v1, v13
	v_fma_f16 v14, v34, s11, -v86
	v_fma_f16 v91, v46, s7, -v90
	v_mul_f16_e32 v92, 0xba0c, v49
	v_add_f16_e32 v13, v14, v13
	v_fma_f16 v14, v37, s12, -v87
	v_add_f16_e32 v91, v32, v91
	v_fma_f16 v93, v48, s11, -v92
	v_add_f16_e32 v13, v14, v13
	v_fma_f16 v14, v40, s10, -v88
	v_add_f16_e32 v91, v93, v91
	v_mul_f16_e32 v93, 0x3482, v51
	v_add_f16_e32 v13, v14, v13
	v_fma_f16 v14, v44, s6, -v89
	v_fma_f16 v94, v50, s12, -v93
	v_add_f16_e32 v13, v14, v13
	v_fma_f16 v14, v46, s7, v90
	v_add_f16_e32 v91, v94, v91
	v_mul_f16_e32 v94, 0x3beb, v53
	v_add_f16_e32 v7, v7, v15
	v_add_f16_e32 v14, v32, v14
	v_fma_f16 v15, v48, s11, v92
	v_fma_f16 v95, v52, s10, -v94
	v_add_f16_e32 v14, v15, v14
	v_fma_f16 v15, v50, s12, v93
	v_add_f16_e32 v91, v95, v91
	v_mul_f16_e32 v95, 0x3853, v66
	v_add_f16_e32 v14, v15, v14
	v_fma_f16 v15, v52, s10, v94
	v_fma_f16 v96, v65, s6, -v95
	v_mul_f16_e32 v24, 0xb853, v24
	v_add_f16_e32 v14, v15, v14
	v_fma_f16 v15, v65, s6, v95
	v_add_f16_e32 v91, v96, v91
	v_fma_f16 v96, v23, s6, v24
	v_mul_f16_e32 v35, 0xbb47, v35
	v_add_f16_e32 v14, v15, v14
	v_fma_f16 v15, v23, s6, -v24
	v_add_f16_e32 v96, v1, v96
	v_fma_f16 v97, v34, s7, v35
	v_mul_f16_e32 v39, 0xbbeb, v39
	v_add_f16_e32 v8, v1, v42
	v_add_f16_e32 v1, v1, v15
	v_fma_f16 v15, v34, s7, -v35
	v_add_f16_e32 v96, v97, v96
	v_fma_f16 v97, v37, s10, v39
	v_mul_f16_e32 v43, 0xba0c, v43
	v_add_f16_e32 v8, v8, v33
	;; [unrolled: 6-line block ×4, first 2 shown]
	v_add_f16_e32 v1, v15, v1
	v_fma_f16 v15, v44, s12, -v45
	v_add_f16_e32 v96, v97, v96
	v_fma_f16 v97, v46, s6, -v47
	v_mul_f16_e32 v49, 0xbb47, v49
	v_add_f16_e32 v8, v8, v25
	v_add_f16_e32 v1, v15, v1
	v_fma_f16 v15, v46, s6, v47
	v_add_f16_e32 v97, v32, v97
	v_fma_f16 v98, v48, s7, -v49
	v_mul_f16_e32 v51, 0xbbeb, v51
	v_add_f16_e32 v7, v7, v16
	v_add_f16_e32 v8, v8, v22
	;; [unrolled: 1-line block ×3, first 2 shown]
	v_fma_f16 v16, v48, s7, v49
	v_add_f16_e32 v97, v98, v97
	v_fma_f16 v98, v50, s10, -v51
	v_mul_f16_e32 v53, 0xba0c, v53
	v_add_f16_e32 v8, v8, v21
	v_add_f16_e32 v15, v16, v15
	v_fma_f16 v16, v50, s10, v51
	v_add_f16_e32 v97, v98, v97
	v_fma_f16 v98, v52, s11, -v53
	v_mul_f16_e32 v66, 0xb482, v66
	v_add_f16_e32 v8, v8, v20
	v_add_f16_e32 v15, v16, v15
	v_fma_f16 v16, v52, s11, v53
	v_add_f16_e32 v97, v98, v97
	v_fma_f16 v98, v65, s12, -v66
	v_add_f16_e32 v8, v8, v19
	v_add_f16_e32 v15, v16, v15
	v_fma_f16 v16, v65, s12, v66
	v_add_f16_e32 v97, v98, v97
	v_add_f16_e32 v8, v8, v38
	;; [unrolled: 1-line block ×3, first 2 shown]
	v_mad_u32_u24 v16, v17, s14, 0
	v_lshlrev_b32_sdwa v17, v18, v41 dst_sel:DWORD dst_unused:UNUSED_PAD src0_sel:DWORD src1_sel:BYTE_0
	v_add3_u32 v16, v16, v17, v30
	v_pack_b32_f16 v7, v7, v8
	v_pack_b32_f16 v8, v97, v96
	ds_write2_b32 v16, v7, v8 offset1:6
	v_pack_b32_f16 v7, v91, v85
	v_pack_b32_f16 v8, v79, v73
	ds_write2_b32 v16, v7, v8 offset0:12 offset1:18
	v_pack_b32_f16 v7, v67, v57
	v_pack_b32_f16 v8, v55, v54
	ds_write2_b32 v16, v7, v8 offset0:24 offset1:30
	;; [unrolled: 3-line block ×3, first 2 shown]
	v_pack_b32_f16 v7, v12, v11
	v_pack_b32_f16 v8, v14, v13
	;; [unrolled: 1-line block ×3, first 2 shown]
	ds_write2_b32 v16, v7, v8 offset0:48 offset1:54
	ds_write_b32 v16, v1 offset:240
.LBB0_16:
	s_or_b64 exec, exec, s[4:5]
	v_add_u32_e32 v17, 0xc6, v0
	s_mov_b32 s4, 0xf83f
	v_mul_u32_u24_sdwa v19, v17, s4 dst_sel:DWORD dst_unused:UNUSED_PAD src0_sel:WORD_0 src1_sel:DWORD
	v_lshrrev_b32_e32 v19, 22, v19
	v_add_u32_e32 v16, 0x108, v0
	v_mul_lo_u16_e32 v19, 0x42, v19
	v_sub_u16_e32 v19, v17, v19
	v_mul_u32_u24_sdwa v33, v16, s4 dst_sel:DWORD dst_unused:UNUSED_PAD src0_sel:WORD_0 src1_sel:DWORD
	v_lshlrev_b32_e32 v26, 2, v19
	v_lshrrev_b32_e32 v19, 22, v33
	v_add_u32_e32 v14, 0x14a, v0
	v_mul_lo_u16_e32 v19, 0x42, v19
	v_sub_u16_e32 v19, v16, v19
	v_mul_u32_u24_sdwa v35, v14, s4 dst_sel:DWORD dst_unused:UNUSED_PAD src0_sel:WORD_0 src1_sel:DWORD
	v_lshlrev_b32_e32 v34, 2, v19
	v_lshrrev_b32_e32 v19, 22, v35
	v_mul_lo_u16_e32 v19, 0x42, v19
	v_add_u32_e32 v7, 0x18c, v0
	v_sub_u16_e32 v19, v14, v19
	v_lshlrev_b32_e32 v36, 2, v19
	v_mul_u32_u24_sdwa v19, v7, s4 dst_sel:DWORD dst_unused:UNUSED_PAD src0_sel:WORD_0 src1_sel:DWORD
	v_lshrrev_b32_e32 v19, 22, v19
	v_mul_lo_u16_e32 v19, 0x42, v19
	v_add_u32_e32 v12, 0x1ce, v0
	v_sub_u16_e32 v7, v7, v19
	v_lshlrev_b32_e32 v37, 2, v7
	v_mul_u32_u24_sdwa v7, v12, s4 dst_sel:DWORD dst_unused:UNUSED_PAD src0_sel:WORD_0 src1_sel:DWORD
	v_lshrrev_b32_e32 v7, 22, v7
	v_mul_lo_u16_e32 v7, 0x42, v7
	v_add_u32_e32 v13, 0x210, v0
	v_sub_u16_e32 v7, v12, v7
	v_mov_b32_e32 v1, 0
	v_lshlrev_b32_e32 v38, 2, v7
	v_mul_u32_u24_sdwa v7, v13, s4 dst_sel:DWORD dst_unused:UNUSED_PAD src0_sel:WORD_0 src1_sel:DWORD
	v_lshlrev_b64 v[8:9], 2, v[0:1]
	v_lshrrev_b32_e32 v7, 22, v7
	v_mul_lo_u16_e32 v7, 0x42, v7
	v_mov_b32_e32 v15, s9
	v_add_co_u32_e32 v10, vcc, s8, v8
	v_sub_u16_e32 v7, v13, v7
	s_waitcnt lgkmcnt(0)
	s_barrier
	v_addc_co_u32_e32 v11, vcc, v15, v9, vcc
	v_lshlrev_b32_e32 v13, 2, v7
	global_load_dword v39, v26, s[8:9] offset:240
	global_load_dword v40, v34, s[8:9] offset:240
	global_load_dword v41, v36, s[8:9] offset:240
	global_load_dword v42, v37, s[8:9] offset:240
	global_load_dword v43, v38, s[8:9] offset:240
	global_load_dword v44, v13, s[8:9] offset:240
	global_load_dword v45, v[10:11], off offset:240
	s_movk_i32 s4, 0xf9
	v_mul_lo_u16_sdwa v7, v6, s4 dst_sel:DWORD dst_unused:UNUSED_PAD src0_sel:BYTE_0 src1_sel:DWORD
	v_lshrrev_b16_e32 v7, 14, v7
	v_mul_lo_u16_e32 v7, 0x42, v7
	v_sub_u16_e32 v7, v6, v7
	v_lshlrev_b32_sdwa v46, v18, v7 dst_sel:DWORD dst_unused:UNUSED_PAD src0_sel:DWORD src1_sel:BYTE_0
	global_load_dword v47, v46, s[8:9] offset:240
	v_add_u32_e32 v7, 0x800, v29
	ds_read2_b32 v[20:21], v7 offset0:82 offset1:148
	ds_read_b32 v48, v27
	v_lshlrev_b32_e32 v12, 2, v6
	v_add_u32_e32 v10, 0x200, v29
	v_add3_u32 v11, 0, v31, v30
	v_add_u32_e32 v19, 0x400, v29
	v_add_u32_e32 v18, 0x600, v29
	v_add3_u32 v12, 0, v12, v30
	ds_read2_b32 v[22:23], v10 offset0:70 offset1:136
	ds_read2_b32 v[24:25], v19 offset0:74 offset1:140
	;; [unrolled: 1-line block ×3, first 2 shown]
	ds_read_b32 v49, v12
	ds_read_b32 v50, v11
	ds_read_b32 v51, v29 offset:4488
	s_mov_b32 s6, 0xffff
	v_add_u32_e32 v56, 0xc00, v29
	v_add_u32_e32 v57, 0xa00, v29
	v_add3_u32 v46, 0, v46, v30
	v_add3_u32 v26, 0, v26, v30
	;; [unrolled: 1-line block ×6, first 2 shown]
	v_lshrrev_b32_e32 v35, 23, v35
	v_mul_lo_u16_e32 v35, 0x84, v35
	s_movk_i32 s4, 0x3aee
	s_mov_b32 s5, 0xbaee
	s_add_u32 s7, s8, 0x1278
	s_waitcnt vmcnt(1) lgkmcnt(7)
	v_pk_mul_f16 v52, v45, v21 op_sel:[0,1]
	v_pk_mul_f16 v53, v45, v20 op_sel:[0,1]
	v_pk_fma_f16 v54, v45, v21, v52 op_sel:[0,0,1] op_sel_hi:[1,1,0] neg_lo:[0,0,1] neg_hi:[0,0,1]
	v_pk_fma_f16 v21, v45, v21, v52 op_sel:[0,0,1] op_sel_hi:[1,0,0]
	v_pk_fma_f16 v52, v45, v20, v53 op_sel:[0,0,1] op_sel_hi:[1,1,0] neg_lo:[0,0,1] neg_hi:[0,0,1]
	v_pk_fma_f16 v20, v45, v20, v53 op_sel:[0,0,1] op_sel_hi:[1,0,0]
	v_bfi_b32 v21, s6, v54, v21
	v_bfi_b32 v20, s6, v52, v20
	v_add3_u32 v53, 0, v13, v30
	v_add_u32_e32 v13, 0xe00, v29
	s_waitcnt lgkmcnt(1)
	v_pk_add_f16 v45, v50, v21 neg_lo:[0,1] neg_hi:[0,1]
	v_pk_add_f16 v52, v48, v20 neg_lo:[0,1] neg_hi:[0,1]
	ds_read2_b32 v[20:21], v13 offset0:94 offset1:160
	s_waitcnt lgkmcnt(1)
	v_pk_mul_f16 v54, v51, v44 op_sel:[0,1]
	v_pk_fma_f16 v55, v51, v44, v54 op_sel:[0,0,1] op_sel_hi:[1,1,0] neg_lo:[0,0,1] neg_hi:[0,0,1]
	v_pk_fma_f16 v44, v51, v44, v54 op_sel:[0,0,1] op_sel_hi:[1,0,0]
	v_bfi_b32 v44, s6, v55, v44
	v_pk_add_f16 v44, v32, v44 neg_lo:[0,1] neg_hi:[0,1]
	v_pk_fma_f16 v51, v32, 2.0, v44 op_sel_hi:[1,0,1] neg_lo:[0,0,1] neg_hi:[0,0,1]
	s_waitcnt lgkmcnt(0)
	v_pk_mul_f16 v32, v21, v43 op_sel:[0,1]
	v_pk_fma_f16 v54, v21, v43, v32 op_sel:[0,0,1] op_sel_hi:[1,1,0] neg_lo:[0,0,1] neg_hi:[0,0,1]
	v_pk_fma_f16 v21, v21, v43, v32 op_sel:[0,0,1] op_sel_hi:[1,0,0]
	v_bfi_b32 v21, s6, v54, v21
	v_pk_add_f16 v43, v31, v21 neg_lo:[0,1] neg_hi:[0,1]
	v_pk_fma_f16 v54, v31, 2.0, v43 op_sel_hi:[1,0,1] neg_lo:[0,0,1] neg_hi:[0,0,1]
	ds_read2_b32 v[31:32], v56 offset0:90 offset1:156
	v_pk_mul_f16 v21, v20, v42 op_sel:[0,1]
	v_pk_fma_f16 v55, v20, v42, v21 op_sel:[0,0,1] op_sel_hi:[1,1,0] neg_lo:[0,0,1] neg_hi:[0,0,1]
	v_pk_fma_f16 v20, v20, v42, v21 op_sel:[0,0,1] op_sel_hi:[1,0,0]
	v_bfi_b32 v20, s6, v55, v20
	v_pk_add_f16 v42, v25, v20 neg_lo:[0,1] neg_hi:[0,1]
	s_waitcnt lgkmcnt(0)
	v_pk_mul_f16 v20, v32, v41 op_sel:[0,1]
	v_pk_fma_f16 v21, v32, v41, v20 op_sel:[0,0,1] op_sel_hi:[1,1,0] neg_lo:[0,0,1] neg_hi:[0,0,1]
	v_pk_fma_f16 v20, v32, v41, v20 op_sel:[0,0,1] op_sel_hi:[1,0,0]
	v_bfi_b32 v20, s6, v21, v20
	v_pk_add_f16 v32, v24, v20 neg_lo:[0,1] neg_hi:[0,1]
	ds_read2_b32 v[20:21], v57 offset0:86 offset1:152
	v_pk_mul_f16 v41, v31, v40 op_sel:[0,1]
	v_pk_fma_f16 v55, v31, v40, v41 op_sel:[0,0,1] op_sel_hi:[1,1,0] neg_lo:[0,0,1] neg_hi:[0,0,1]
	v_pk_fma_f16 v31, v31, v40, v41 op_sel:[0,0,1] op_sel_hi:[1,0,0]
	v_pk_fma_f16 v48, v48, 2.0, v52 op_sel_hi:[1,0,1] neg_lo:[0,0,1] neg_hi:[0,0,1]
	s_waitcnt lgkmcnt(0)
	v_pk_mul_f16 v40, v21, v39 op_sel:[0,1]
	v_pk_fma_f16 v41, v21, v39, v40 op_sel:[0,0,1] op_sel_hi:[1,1,0] neg_lo:[0,0,1] neg_hi:[0,0,1]
	v_pk_fma_f16 v21, v21, v39, v40 op_sel:[0,0,1] op_sel_hi:[1,0,0]
	s_waitcnt vmcnt(0)
	v_pk_mul_f16 v39, v20, v47 op_sel:[0,1]
	v_pk_fma_f16 v40, v20, v47, v39 op_sel:[0,0,1] op_sel_hi:[1,1,0] neg_lo:[0,0,1] neg_hi:[0,0,1]
	v_pk_fma_f16 v20, v20, v47, v39 op_sel:[0,0,1] op_sel_hi:[1,0,0]
	v_bfi_b32 v20, s6, v40, v20
	v_bfi_b32 v21, s6, v41, v21
	v_pk_add_f16 v20, v49, v20 neg_lo:[0,1] neg_hi:[0,1]
	v_bfi_b32 v31, s6, v55, v31
	v_pk_add_f16 v21, v22, v21 neg_lo:[0,1] neg_hi:[0,1]
	v_pk_fma_f16 v39, v49, 2.0, v20 op_sel_hi:[1,0,1] neg_lo:[0,0,1] neg_hi:[0,0,1]
	v_add_u32_e32 v40, 0x400, v46
	v_pk_fma_f16 v50, v50, 2.0, v45 op_sel_hi:[1,0,1] neg_lo:[0,0,1] neg_hi:[0,0,1]
	v_pk_add_f16 v31, v23, v31 neg_lo:[0,1] neg_hi:[0,1]
	v_pk_fma_f16 v22, v22, 2.0, v21 op_sel_hi:[1,0,1] neg_lo:[0,0,1] neg_hi:[0,0,1]
	s_barrier
	ds_write2_b32 v29, v48, v52 offset1:66
	ds_write2_b32 v29, v50, v45 offset0:132 offset1:198
	ds_write2_b32 v40, v39, v20 offset0:8 offset1:74
	v_add_u32_e32 v20, 0x400, v26
	v_pk_fma_f16 v23, v23, 2.0, v31 op_sel_hi:[1,0,1] neg_lo:[0,0,1] neg_hi:[0,0,1]
	ds_write2_b32 v20, v22, v21 offset0:140 offset1:206
	v_add_u32_e32 v20, 0x800, v34
	v_pk_fma_f16 v24, v24, 2.0, v32 op_sel_hi:[1,0,1] neg_lo:[0,0,1] neg_hi:[0,0,1]
	;; [unrolled: 3-line block ×3, first 2 shown]
	ds_write2_b32 v20, v24, v32 offset0:148 offset1:214
	v_add_u32_e32 v20, 0xc00, v37
	ds_write2_b32 v20, v25, v42 offset0:24 offset1:90
	v_add_u32_e32 v20, 0xc00, v38
	;; [unrolled: 2-line block ×3, first 2 shown]
	ds_write2_b32 v20, v51, v44 offset0:32 offset1:98
	v_lshlrev_b32_e32 v20, 1, v0
	v_mov_b32_e32 v21, v1
	v_lshlrev_b64 v[20:21], 2, v[20:21]
	s_waitcnt lgkmcnt(0)
	v_add_co_u32_e32 v20, vcc, s8, v20
	v_addc_co_u32_e32 v21, vcc, v15, v21, vcc
	s_barrier
	global_load_dwordx2 v[22:23], v[20:21], off offset:504
	v_lshlrev_b32_e32 v24, 1, v4
	v_mov_b32_e32 v25, v1
	v_lshlrev_b64 v[24:25], 2, v[24:25]
	v_lshrrev_b32_e32 v26, 23, v33
	v_add_co_u32_e32 v24, vcc, s8, v24
	v_addc_co_u32_e32 v25, vcc, v15, v25, vcc
	global_load_dwordx2 v[31:32], v[24:25], off offset:504
	v_mul_lo_u16_e32 v26, 0x84, v26
	v_sub_u16_e32 v26, v16, v26
	v_lshlrev_b32_e32 v33, 3, v26
	global_load_dwordx2 v[33:34], v33, s[8:9] offset:504
	v_sub_u16_e32 v51, v14, v35
	v_lshlrev_b32_e32 v35, 3, v51
	global_load_dwordx2 v[35:36], v35, s[8:9] offset:504
	ds_read_b32 v52, v27
	ds_read_b32 v53, v12
	;; [unrolled: 1-line block ×3, first 2 shown]
	ds_read_b32 v55, v29 offset:4488
	ds_read2_b32 v[37:38], v19 offset0:74 offset1:140
	ds_read2_b32 v[39:40], v57 offset0:86 offset1:152
	;; [unrolled: 1-line block ×7, first 2 shown]
	s_waitcnt lgkmcnt(10)
	v_lshrrev_b32_e32 v58, 16, v52
	s_waitcnt lgkmcnt(6)
	v_lshrrev_b32_e32 v72, 16, v38
	;; [unrolled: 2-line block ×6, first 2 shown]
	v_lshrrev_b32_e32 v67, 16, v48
	v_lshrrev_b32_e32 v68, 16, v50
	;; [unrolled: 1-line block ×9, first 2 shown]
	s_waitcnt vmcnt(0)
	s_barrier
	v_lshlrev_b32_e32 v16, 1, v16
	v_mul_f16_sdwa v73, v22, v72 dst_sel:DWORD dst_unused:UNUSED_PAD src0_sel:WORD_1 src1_sel:DWORD
	v_fma_f16 v73, v22, v38, -v73
	v_mul_f16_sdwa v38, v22, v38 dst_sel:DWORD dst_unused:UNUSED_PAD src0_sel:WORD_1 src1_sel:DWORD
	v_fma_f16 v38, v22, v72, v38
	v_lshrrev_b32_e32 v72, 16, v40
	v_mul_f16_sdwa v74, v23, v72 dst_sel:DWORD dst_unused:UNUSED_PAD src0_sel:WORD_1 src1_sel:DWORD
	v_fma_f16 v74, v23, v40, -v74
	v_mul_f16_sdwa v40, v23, v40 dst_sel:DWORD dst_unused:UNUSED_PAD src0_sel:WORD_1 src1_sel:DWORD
	v_fma_f16 v40, v23, v72, v40
	v_lshrrev_b32_e32 v72, 16, v41
	;; [unrolled: 5-line block ×3, first 2 shown]
	v_mul_f16_sdwa v76, v32, v72 dst_sel:DWORD dst_unused:UNUSED_PAD src0_sel:WORD_1 src1_sel:DWORD
	v_fma_f16 v76, v32, v43, -v76
	v_mul_f16_sdwa v43, v32, v43 dst_sel:DWORD dst_unused:UNUSED_PAD src0_sel:WORD_1 src1_sel:DWORD
	v_fma_f16 v43, v32, v72, v43
	v_mul_f16_sdwa v72, v61, v22 dst_sel:DWORD dst_unused:UNUSED_PAD src0_sel:DWORD src1_sel:WORD_1
	v_fma_f16 v72, v42, v22, -v72
	v_mul_f16_sdwa v42, v42, v22 dst_sel:DWORD dst_unused:UNUSED_PAD src0_sel:DWORD src1_sel:WORD_1
	v_fma_f16 v22, v61, v22, v42
	v_mul_f16_sdwa v42, v62, v23 dst_sel:DWORD dst_unused:UNUSED_PAD src0_sel:DWORD src1_sel:WORD_1
	v_fma_f16 v42, v44, v23, -v42
	v_mul_f16_sdwa v44, v44, v23 dst_sel:DWORD dst_unused:UNUSED_PAD src0_sel:DWORD src1_sel:WORD_1
	v_fma_f16 v23, v62, v23, v44
	v_mul_f16_sdwa v44, v64, v31 dst_sel:DWORD dst_unused:UNUSED_PAD src0_sel:DWORD src1_sel:WORD_1
	v_fma_f16 v44, v47, v31, -v44
	v_mul_f16_sdwa v47, v47, v31 dst_sel:DWORD dst_unused:UNUSED_PAD src0_sel:DWORD src1_sel:WORD_1
	v_fma_f16 v31, v64, v31, v47
	v_mul_f16_sdwa v47, v65, v32 dst_sel:DWORD dst_unused:UNUSED_PAD src0_sel:DWORD src1_sel:WORD_1
	v_fma_f16 v47, v49, v32, -v47
	v_mul_f16_sdwa v49, v49, v32 dst_sel:DWORD dst_unused:UNUSED_PAD src0_sel:DWORD src1_sel:WORD_1
	v_fma_f16 v32, v65, v32, v49
	v_mul_f16_sdwa v49, v67, v33 dst_sel:DWORD dst_unused:UNUSED_PAD src0_sel:DWORD src1_sel:WORD_1
	v_fma_f16 v49, v48, v33, -v49
	v_mul_f16_sdwa v48, v48, v33 dst_sel:DWORD dst_unused:UNUSED_PAD src0_sel:DWORD src1_sel:WORD_1
	v_fma_f16 v33, v67, v33, v48
	v_mul_f16_sdwa v48, v68, v34 dst_sel:DWORD dst_unused:UNUSED_PAD src0_sel:DWORD src1_sel:WORD_1
	v_fma_f16 v48, v50, v34, -v48
	v_mul_f16_sdwa v50, v50, v34 dst_sel:DWORD dst_unused:UNUSED_PAD src0_sel:DWORD src1_sel:WORD_1
	v_fma_f16 v34, v68, v34, v50
	v_mul_f16_sdwa v50, v70, v35 dst_sel:DWORD dst_unused:UNUSED_PAD src0_sel:DWORD src1_sel:WORD_1
	v_fma_f16 v50, v39, v35, -v50
	v_mul_f16_sdwa v39, v39, v35 dst_sel:DWORD dst_unused:UNUSED_PAD src0_sel:DWORD src1_sel:WORD_1
	v_fma_f16 v35, v70, v35, v39
	v_mul_f16_sdwa v39, v71, v36 dst_sel:DWORD dst_unused:UNUSED_PAD src0_sel:DWORD src1_sel:WORD_1
	v_fma_f16 v39, v55, v36, -v39
	v_mul_f16_sdwa v55, v55, v36 dst_sel:DWORD dst_unused:UNUSED_PAD src0_sel:DWORD src1_sel:WORD_1
	v_add_f16_e32 v61, v73, v74
	v_fma_f16 v36, v71, v36, v55
	v_add_f16_e32 v55, v52, v73
	v_fma_f16 v52, v61, -0.5, v52
	v_sub_f16_e32 v61, v38, v40
	v_fma_f16 v62, v61, s4, v52
	v_fma_f16 v52, v61, s5, v52
	v_add_f16_e32 v61, v58, v38
	v_add_f16_e32 v38, v38, v40
	;; [unrolled: 1-line block ×3, first 2 shown]
	v_fma_f16 v38, v38, -0.5, v58
	v_sub_f16_e32 v40, v73, v74
	v_add_f16_e32 v64, v75, v76
	v_fma_f16 v58, v40, s5, v38
	v_fma_f16 v38, v40, s4, v38
	v_add_f16_e32 v40, v54, v75
	v_fma_f16 v54, v64, -0.5, v54
	v_sub_f16_e32 v64, v41, v43
	v_fma_f16 v65, v64, s4, v54
	v_fma_f16 v54, v64, s5, v54
	v_add_f16_e32 v64, v59, v41
	v_add_f16_e32 v41, v41, v43
	;; [unrolled: 1-line block ×3, first 2 shown]
	v_fma_f16 v41, v41, -0.5, v59
	v_sub_f16_e32 v43, v75, v76
	v_add_f16_e32 v67, v72, v42
	v_fma_f16 v59, v43, s5, v41
	v_fma_f16 v41, v43, s4, v41
	v_add_f16_e32 v43, v53, v72
	v_fma_f16 v53, v67, -0.5, v53
	v_sub_f16_e32 v67, v22, v23
	v_fma_f16 v68, v67, s4, v53
	v_fma_f16 v53, v67, s5, v53
	v_add_f16_e32 v67, v60, v22
	v_add_f16_e32 v22, v22, v23
	;; [unrolled: 1-line block ×3, first 2 shown]
	v_fma_f16 v22, v22, -0.5, v60
	v_sub_f16_e32 v23, v72, v42
	v_add_f16_e32 v60, v44, v47
	v_add_f16_e32 v43, v43, v42
	v_fma_f16 v42, v23, s5, v22
	v_fma_f16 v22, v23, s4, v22
	v_add_f16_e32 v23, v45, v44
	v_fma_f16 v45, v60, -0.5, v45
	v_sub_f16_e32 v60, v31, v32
	v_fma_f16 v70, v60, s4, v45
	v_fma_f16 v45, v60, s5, v45
	v_add_f16_e32 v60, v63, v31
	v_add_f16_e32 v31, v31, v32
	;; [unrolled: 1-line block ×4, first 2 shown]
	v_fma_f16 v31, v31, -0.5, v63
	v_sub_f16_e32 v32, v44, v47
	v_add_f16_e32 v47, v49, v48
	v_fma_f16 v44, v32, s5, v31
	v_fma_f16 v31, v32, s4, v31
	v_add_f16_e32 v32, v46, v49
	v_fma_f16 v46, v47, -0.5, v46
	v_sub_f16_e32 v47, v33, v34
	v_fma_f16 v63, v47, s4, v46
	v_fma_f16 v46, v47, s5, v46
	v_add_f16_e32 v47, v66, v33
	v_add_f16_e32 v33, v33, v34
	;; [unrolled: 1-line block ×3, first 2 shown]
	v_fma_f16 v33, v33, -0.5, v66
	v_sub_f16_e32 v34, v49, v48
	v_add_f16_e32 v49, v50, v39
	v_add_f16_e32 v32, v32, v48
	v_fma_f16 v48, v34, s5, v33
	v_fma_f16 v33, v34, s4, v33
	v_add_f16_e32 v34, v37, v50
	v_fma_f16 v37, v49, -0.5, v37
	v_sub_f16_e32 v49, v35, v36
	v_fma_f16 v66, v49, s4, v37
	v_fma_f16 v37, v49, s5, v37
	v_add_f16_e32 v49, v69, v35
	v_add_f16_e32 v35, v35, v36
	;; [unrolled: 1-line block ×4, first 2 shown]
	v_fma_f16 v35, v35, -0.5, v69
	v_sub_f16_e32 v36, v50, v39
	v_add_f16_e32 v34, v34, v39
	v_fma_f16 v39, v36, s5, v35
	v_fma_f16 v35, v36, s4, v35
	v_pack_b32_f16 v36, v55, v61
	v_pack_b32_f16 v50, v62, v58
	v_add_f16_e32 v40, v40, v76
	ds_write2_b32 v29, v36, v50 offset1:132
	v_pack_b32_f16 v36, v52, v38
	ds_write_b32 v29, v36 offset:1056
	v_pack_b32_f16 v36, v40, v64
	v_pack_b32_f16 v38, v65, v59
	ds_write2_b32 v11, v36, v38 offset1:132
	v_pack_b32_f16 v36, v54, v41
	ds_write_b32 v11, v36 offset:1056
	v_pack_b32_f16 v36, v43, v67
	v_pack_b32_f16 v38, v68, v42
	;; [unrolled: 1-line block ×3, first 2 shown]
	ds_write2_b32 v18, v36, v38 offset0:12 offset1:144
	ds_write_b32 v29, v22 offset:2640
	v_pack_b32_f16 v22, v23, v60
	v_pack_b32_f16 v23, v70, v44
	v_add_u32_e32 v36, 0x600, v11
	ds_write2_b32 v36, v22, v23 offset0:12 offset1:144
	v_pack_b32_f16 v22, v45, v31
	ds_write_b32 v11, v22 offset:2640
	v_lshlrev_b32_e32 v22, 2, v26
	v_add3_u32 v22, 0, v22, v30
	v_pack_b32_f16 v23, v32, v47
	v_pack_b32_f16 v26, v63, v48
	v_add_u32_e32 v31, 0xc00, v22
	ds_write2_b32 v31, v23, v26 offset0:24 offset1:156
	v_pack_b32_f16 v23, v46, v33
	ds_write_b32 v22, v23 offset:4224
	v_lshlrev_b32_e32 v22, 2, v51
	v_add3_u32 v22, 0, v22, v30
	v_pack_b32_f16 v23, v34, v49
	v_pack_b32_f16 v26, v66, v39
	v_add_u32_e32 v30, 0xc00, v22
	ds_write2_b32 v30, v23, v26 offset0:24 offset1:156
	v_pack_b32_f16 v23, v37, v35
	ds_write_b32 v22, v23 offset:4224
	s_waitcnt lgkmcnt(0)
	s_barrier
	global_load_dwordx2 v[22:23], v[20:21], off offset:1560
	global_load_dwordx2 v[30:31], v[24:25], off offset:1560
	v_lshlrev_b32_e32 v20, 1, v6
	v_mov_b32_e32 v21, v1
	v_lshlrev_b64 v[20:21], 2, v[20:21]
	v_lshlrev_b32_e32 v24, 1, v17
	v_add_co_u32_e32 v20, vcc, s8, v20
	v_mov_b32_e32 v25, v1
	v_addc_co_u32_e32 v21, vcc, v15, v21, vcc
	v_lshlrev_b64 v[24:25], 2, v[24:25]
	global_load_dwordx2 v[20:21], v[20:21], off offset:1560
	v_mov_b32_e32 v17, v1
	v_add_co_u32_e32 v24, vcc, s8, v24
	v_lshlrev_b64 v[16:17], 2, v[16:17]
	v_addc_co_u32_e32 v25, vcc, v15, v25, vcc
	global_load_dwordx2 v[24:25], v[24:25], off offset:1560
	v_add_co_u32_e32 v16, vcc, s8, v16
	v_lshlrev_b32_e32 v32, 1, v14
	v_mov_b32_e32 v33, v1
	v_addc_co_u32_e32 v17, vcc, v15, v17, vcc
	v_lshlrev_b64 v[32:33], 2, v[32:33]
	global_load_dwordx2 v[16:17], v[16:17], off offset:1560
	v_add_co_u32_e32 v14, vcc, s8, v32
	v_addc_co_u32_e32 v15, vcc, v15, v33, vcc
	global_load_dwordx2 v[14:15], v[14:15], off offset:1560
	ds_read_b32 v1, v27
	ds_read_b32 v26, v12
	;; [unrolled: 1-line block ×3, first 2 shown]
	ds_read_b32 v45, v29 offset:4488
	ds_read2_b32 v[32:33], v19 offset0:74 offset1:140
	ds_read2_b32 v[34:35], v57 offset0:86 offset1:152
	;; [unrolled: 1-line block ×7, first 2 shown]
	s_waitcnt lgkmcnt(10)
	v_lshrrev_b32_e32 v46, 16, v1
	s_waitcnt lgkmcnt(6)
	v_lshrrev_b32_e32 v60, 16, v33
	;; [unrolled: 2-line block ×6, first 2 shown]
	v_lshrrev_b32_e32 v55, 16, v41
	v_lshrrev_b32_e32 v56, 16, v43
	;; [unrolled: 1-line block ×9, first 2 shown]
	s_waitcnt vmcnt(0)
	s_barrier
	s_addc_u32 s8, s9, 0
	v_cmp_ne_u32_e32 vcc, 0, v0
	v_mul_f16_sdwa v61, v22, v60 dst_sel:DWORD dst_unused:UNUSED_PAD src0_sel:WORD_1 src1_sel:DWORD
	v_fma_f16 v61, v22, v33, -v61
	v_mul_f16_sdwa v33, v22, v33 dst_sel:DWORD dst_unused:UNUSED_PAD src0_sel:WORD_1 src1_sel:DWORD
	v_fma_f16 v22, v22, v60, v33
	v_lshrrev_b32_e32 v33, 16, v35
	v_mul_f16_sdwa v60, v23, v33 dst_sel:DWORD dst_unused:UNUSED_PAD src0_sel:WORD_1 src1_sel:DWORD
	v_fma_f16 v60, v23, v35, -v60
	v_mul_f16_sdwa v35, v23, v35 dst_sel:DWORD dst_unused:UNUSED_PAD src0_sel:WORD_1 src1_sel:DWORD
	v_fma_f16 v23, v23, v33, v35
	v_lshrrev_b32_e32 v33, 16, v18
	;; [unrolled: 5-line block ×3, first 2 shown]
	v_mul_f16_sdwa v33, v31, v30 dst_sel:DWORD dst_unused:UNUSED_PAD src0_sel:WORD_1 src1_sel:DWORD
	v_fma_f16 v33, v31, v36, -v33
	v_mul_f16_sdwa v36, v31, v36 dst_sel:DWORD dst_unused:UNUSED_PAD src0_sel:WORD_1 src1_sel:DWORD
	v_fma_f16 v30, v31, v30, v36
	v_mul_f16_sdwa v31, v49, v20 dst_sel:DWORD dst_unused:UNUSED_PAD src0_sel:DWORD src1_sel:WORD_1
	v_fma_f16 v31, v19, v20, -v31
	v_mul_f16_sdwa v19, v19, v20 dst_sel:DWORD dst_unused:UNUSED_PAD src0_sel:DWORD src1_sel:WORD_1
	v_fma_f16 v19, v49, v20, v19
	v_mul_f16_sdwa v20, v50, v21 dst_sel:DWORD dst_unused:UNUSED_PAD src0_sel:DWORD src1_sel:WORD_1
	v_mul_f16_sdwa v36, v37, v21 dst_sel:DWORD dst_unused:UNUSED_PAD src0_sel:DWORD src1_sel:WORD_1
	v_fma_f16 v20, v37, v21, -v20
	v_fma_f16 v21, v50, v21, v36
	v_mul_f16_sdwa v36, v52, v24 dst_sel:DWORD dst_unused:UNUSED_PAD src0_sel:DWORD src1_sel:WORD_1
	v_mul_f16_sdwa v37, v40, v24 dst_sel:DWORD dst_unused:UNUSED_PAD src0_sel:DWORD src1_sel:WORD_1
	v_fma_f16 v36, v40, v24, -v36
	;; [unrolled: 4-line block ×3, first 2 shown]
	v_fma_f16 v25, v53, v25, v40
	v_mul_f16_sdwa v40, v55, v16 dst_sel:DWORD dst_unused:UNUSED_PAD src0_sel:DWORD src1_sel:WORD_1
	v_fma_f16 v40, v41, v16, -v40
	v_mul_f16_sdwa v41, v41, v16 dst_sel:DWORD dst_unused:UNUSED_PAD src0_sel:DWORD src1_sel:WORD_1
	v_fma_f16 v16, v55, v16, v41
	v_mul_f16_sdwa v41, v56, v17 dst_sel:DWORD dst_unused:UNUSED_PAD src0_sel:DWORD src1_sel:WORD_1
	v_mul_f16_sdwa v42, v43, v17 dst_sel:DWORD dst_unused:UNUSED_PAD src0_sel:DWORD src1_sel:WORD_1
	v_fma_f16 v41, v43, v17, -v41
	v_fma_f16 v17, v56, v17, v42
	v_mul_f16_sdwa v42, v58, v14 dst_sel:DWORD dst_unused:UNUSED_PAD src0_sel:DWORD src1_sel:WORD_1
	v_fma_f16 v42, v34, v14, -v42
	v_mul_f16_sdwa v34, v34, v14 dst_sel:DWORD dst_unused:UNUSED_PAD src0_sel:DWORD src1_sel:WORD_1
	v_fma_f16 v14, v58, v14, v34
	v_mul_f16_sdwa v34, v59, v15 dst_sel:DWORD dst_unused:UNUSED_PAD src0_sel:DWORD src1_sel:WORD_1
	v_fma_f16 v34, v45, v15, -v34
	v_mul_f16_sdwa v43, v45, v15 dst_sel:DWORD dst_unused:UNUSED_PAD src0_sel:DWORD src1_sel:WORD_1
	v_add_f16_e32 v45, v61, v60
	v_fma_f16 v15, v59, v15, v43
	v_add_f16_e32 v43, v1, v61
	v_fma_f16 v1, v45, -0.5, v1
	v_sub_f16_e32 v45, v22, v23
	v_fma_f16 v49, v45, s4, v1
	v_fma_f16 v1, v45, s5, v1
	v_add_f16_e32 v45, v46, v22
	v_add_f16_e32 v22, v22, v23
	;; [unrolled: 1-line block ×3, first 2 shown]
	v_fma_f16 v22, v22, -0.5, v46
	v_sub_f16_e32 v23, v61, v60
	v_add_f16_e32 v50, v35, v33
	v_fma_f16 v46, v23, s5, v22
	v_fma_f16 v22, v23, s4, v22
	v_add_f16_e32 v23, v44, v35
	v_fma_f16 v44, v50, -0.5, v44
	v_sub_f16_e32 v50, v18, v30
	v_fma_f16 v52, v50, s4, v44
	v_fma_f16 v44, v50, s5, v44
	v_add_f16_e32 v50, v47, v18
	v_add_f16_e32 v18, v18, v30
	;; [unrolled: 1-line block ×3, first 2 shown]
	v_fma_f16 v18, v18, -0.5, v47
	v_sub_f16_e32 v30, v35, v33
	v_add_f16_e32 v35, v31, v20
	v_add_f16_e32 v23, v23, v33
	v_fma_f16 v33, v30, s5, v18
	v_fma_f16 v18, v30, s4, v18
	v_add_f16_e32 v30, v26, v31
	v_fma_f16 v26, v35, -0.5, v26
	v_sub_f16_e32 v35, v19, v21
	v_fma_f16 v47, v35, s4, v26
	v_fma_f16 v26, v35, s5, v26
	v_add_f16_e32 v35, v48, v19
	v_add_f16_e32 v19, v19, v21
	;; [unrolled: 1-line block ×3, first 2 shown]
	v_fma_f16 v19, v19, -0.5, v48
	v_sub_f16_e32 v20, v31, v20
	v_add_f16_e32 v31, v36, v37
	v_add_f16_e32 v35, v35, v21
	v_fma_f16 v21, v20, s5, v19
	v_fma_f16 v19, v20, s4, v19
	v_add_f16_e32 v20, v38, v36
	v_fma_f16 v31, v31, -0.5, v38
	v_sub_f16_e32 v38, v24, v25
	v_fma_f16 v48, v38, s4, v31
	v_fma_f16 v31, v38, s5, v31
	v_add_f16_e32 v38, v51, v24
	v_add_f16_e32 v24, v24, v25
	v_add_f16_e32 v20, v20, v37
	v_add_f16_e32 v38, v38, v25
	v_fma_f16 v24, v24, -0.5, v51
	v_sub_f16_e32 v25, v36, v37
	v_add_f16_e32 v37, v40, v41
	v_fma_f16 v36, v25, s5, v24
	v_fma_f16 v24, v25, s4, v24
	v_add_f16_e32 v25, v39, v40
	v_fma_f16 v37, v37, -0.5, v39
	v_sub_f16_e32 v39, v16, v17
	v_fma_f16 v51, v39, s4, v37
	v_fma_f16 v37, v39, s5, v37
	v_add_f16_e32 v39, v54, v16
	v_add_f16_e32 v16, v16, v17
	v_add_f16_e32 v25, v25, v41
	v_add_f16_e32 v39, v39, v17
	v_fma_f16 v16, v16, -0.5, v54
	v_sub_f16_e32 v17, v40, v41
	;; [unrolled: 14-line block ×3, first 2 shown]
	v_add_f16_e32 v17, v17, v34
	v_fma_f16 v34, v15, s5, v14
	v_fma_f16 v14, v15, s4, v14
	v_pack_b32_f16 v15, v43, v45
	v_pack_b32_f16 v1, v1, v22
	ds_write_b32 v29, v15
	v_pack_b32_f16 v15, v49, v46
	ds_write_b32 v29, v1 offset:3168
	v_pack_b32_f16 v1, v23, v50
	ds_write_b32 v29, v15 offset:1584
	ds_write_b32 v11, v1
	v_pack_b32_f16 v1, v52, v33
	ds_write_b32 v11, v1 offset:1584
	v_pack_b32_f16 v1, v44, v18
	ds_write_b32 v11, v1 offset:3168
	v_pack_b32_f16 v1, v30, v35
	ds_write_b32 v12, v1
	v_pack_b32_f16 v1, v47, v21
	ds_write_b32 v12, v1 offset:1584
	v_pack_b32_f16 v1, v26, v19
	ds_write_b32 v12, v1 offset:3168
	v_pack_b32_f16 v1, v20, v38
	v_pack_b32_f16 v15, v25, v39
	;; [unrolled: 1-line block ×3, first 2 shown]
	ds_write2_b32 v10, v1, v15 offset0:70 offset1:136
	v_pack_b32_f16 v1, v51, v40
	v_pack_b32_f16 v12, v31, v24
	ds_write2_b32 v7, v11, v1 offset0:82 offset1:148
	v_pack_b32_f16 v1, v37, v16
	ds_write2_b32 v13, v12, v1 offset0:94 offset1:160
	v_pack_b32_f16 v1, v17, v41
	ds_write_b32 v29, v1 offset:1320
	v_pack_b32_f16 v1, v53, v34
	ds_write_b32 v29, v1 offset:2904
	;; [unrolled: 2-line block ×3, first 2 shown]
	s_waitcnt lgkmcnt(0)
	s_barrier
	ds_read_b32 v7, v27
	v_sub_u32_e32 v1, v28, v5
                                        ; implicit-def: $vgpr11
                                        ; implicit-def: $vgpr10
                                        ; implicit-def: $vgpr12
	s_and_saveexec_b64 s[4:5], vcc
	s_xor_b64 s[4:5], exec, s[4:5]
	s_cbranch_execz .LBB0_18
; %bb.17:
	v_mov_b32_e32 v5, s8
	v_add_co_u32_e32 v10, vcc, s7, v8
	v_addc_co_u32_e32 v11, vcc, v5, v9, vcc
	global_load_dword v5, v[10:11], off
	ds_read_b32 v10, v1 offset:4752
	s_waitcnt lgkmcnt(0)
	v_pk_add_f16 v11, v7, v10 neg_lo:[0,1] neg_hi:[0,1]
	v_pk_add_f16 v7, v10, v7
	v_bfi_b32 v10, s6, v11, v7
	v_pk_mul_f16 v10, v10, 0.5 op_sel_hi:[1,0]
	v_bfi_b32 v7, s6, v7, v11
	v_pk_mul_f16 v11, v7, 0.5 op_sel_hi:[1,0]
	s_waitcnt vmcnt(0)
	v_pk_mul_f16 v12, v5, v10 op_sel:[1,0]
	v_pk_mul_f16 v5, v5, v10 op_sel_hi:[0,1]
	v_pk_fma_f16 v7, v7, 0.5, v12 op_sel_hi:[1,0,1]
	v_sub_f16_e32 v10, v11, v12
	v_sub_f16_sdwa v12, v12, v11 dst_sel:DWORD dst_unused:UNUSED_PAD src0_sel:WORD_1 src1_sel:WORD_1
	v_pk_add_f16 v11, v7, v5 op_sel:[0,1] op_sel_hi:[1,0]
	v_pk_add_f16 v7, v7, v5 op_sel:[0,1] op_sel_hi:[1,0] neg_lo:[0,1] neg_hi:[0,1]
	v_sub_f16_sdwa v10, v10, v5 dst_sel:DWORD dst_unused:UNUSED_PAD src0_sel:DWORD src1_sel:WORD_1
	v_bfi_b32 v11, s6, v11, v7
	v_sub_f16_e32 v12, v12, v5
                                        ; implicit-def: $vgpr7
.LBB0_18:
	s_andn2_saveexec_b64 s[4:5], s[4:5]
	s_cbranch_execz .LBB0_20
; %bb.19:
	ds_read_u16 v5, v28 offset:2378
	s_waitcnt lgkmcnt(1)
	v_alignbit_b32 v11, s0, v7, 16
	v_sub_f16_sdwa v10, v7, v7 dst_sel:DWORD dst_unused:UNUSED_PAD src0_sel:DWORD src1_sel:WORD_1
	v_pk_add_f16 v7, v11, v7
	v_pack_b32_f16 v11, v7, 0
	s_waitcnt lgkmcnt(0)
	v_xor_b32_e32 v5, 0x8000, v5
	v_mov_b32_e32 v12, 0
	ds_write_b16 v28, v5 offset:2378
.LBB0_20:
	s_or_b64 exec, exec, s[4:5]
	v_mov_b32_e32 v5, 0
	v_lshlrev_b64 v[13:14], 2, v[4:5]
	s_waitcnt lgkmcnt(0)
	v_mov_b32_e32 v7, s8
	v_add_co_u32_e32 v13, vcc, s7, v13
	v_addc_co_u32_e32 v14, vcc, v7, v14, vcc
	global_load_dword v15, v[13:14], off
	v_mov_b32_e32 v7, v5
	v_lshlrev_b64 v[13:14], 2, v[6:7]
	v_mov_b32_e32 v16, s8
	v_add_co_u32_e32 v13, vcc, s7, v13
	v_addc_co_u32_e32 v14, vcc, v16, v14, vcc
	global_load_dword v5, v[13:14], off
	v_mov_b32_e32 v7, s8
	v_add_co_u32_e32 v13, vcc, s7, v8
	v_addc_co_u32_e32 v14, vcc, v7, v9, vcc
	global_load_dword v7, v[13:14], off offset:792
	ds_write_b16 v1, v12 offset:4754
	ds_write_b32 v27, v11
	ds_write_b16 v1, v10 offset:4752
	v_lshl_add_u32 v4, v4, 2, v28
	ds_read_b32 v10, v4
	ds_read_b32 v11, v1 offset:4488
	global_load_dword v12, v[13:14], off offset:1056
	global_load_dword v16, v[13:14], off offset:1320
	global_load_dword v17, v[13:14], off offset:1584
	global_load_dword v18, v[13:14], off offset:1848
	global_load_dword v19, v[13:14], off offset:2112
	s_mov_b32 s4, 0xffff
	v_lshl_add_u32 v6, v6, 2, v28
	s_waitcnt lgkmcnt(0)
	v_pk_add_f16 v13, v10, v11 neg_lo:[0,1] neg_hi:[0,1]
	v_pk_add_f16 v10, v10, v11
	v_bfi_b32 v11, s4, v13, v10
	v_bfi_b32 v10, s4, v10, v13
	v_pk_mul_f16 v11, v11, 0.5 op_sel_hi:[1,0]
	v_pk_mul_f16 v10, v10, 0.5 op_sel_hi:[1,0]
	s_waitcnt vmcnt(7)
	v_pk_fma_f16 v13, v15, v11, v10 op_sel:[1,0,0]
	v_pk_mul_f16 v14, v15, v11 op_sel_hi:[0,1]
	v_pk_fma_f16 v20, v15, v11, v10 op_sel:[1,0,0] neg_lo:[1,0,0] neg_hi:[1,0,0]
	v_pk_fma_f16 v10, v15, v11, v10 op_sel:[1,0,0] neg_lo:[0,0,1] neg_hi:[0,0,1]
	v_pk_add_f16 v11, v13, v14 op_sel:[0,1] op_sel_hi:[1,0]
	v_pk_add_f16 v13, v13, v14 op_sel:[0,1] op_sel_hi:[1,0] neg_lo:[0,1] neg_hi:[0,1]
	v_pk_add_f16 v15, v20, v14 op_sel:[0,1] op_sel_hi:[1,0] neg_lo:[0,1] neg_hi:[0,1]
	;; [unrolled: 1-line block ×3, first 2 shown]
	v_bfi_b32 v11, s4, v11, v13
	v_bfi_b32 v10, s4, v15, v10
	ds_write_b32 v4, v11
	ds_write_b32 v1, v10 offset:4488
	ds_read_b32 v4, v6
	ds_read_b32 v10, v1 offset:4224
	s_waitcnt lgkmcnt(0)
	v_pk_add_f16 v11, v4, v10 neg_lo:[0,1] neg_hi:[0,1]
	v_pk_add_f16 v4, v4, v10
	v_bfi_b32 v10, s4, v11, v4
	v_bfi_b32 v4, s4, v4, v11
	v_pk_mul_f16 v10, v10, 0.5 op_sel_hi:[1,0]
	v_pk_mul_f16 v4, v4, 0.5 op_sel_hi:[1,0]
	s_waitcnt vmcnt(6)
	v_pk_fma_f16 v11, v5, v10, v4 op_sel:[1,0,0]
	v_pk_mul_f16 v13, v5, v10 op_sel_hi:[0,1]
	v_pk_fma_f16 v14, v5, v10, v4 op_sel:[1,0,0] neg_lo:[1,0,0] neg_hi:[1,0,0]
	v_pk_fma_f16 v4, v5, v10, v4 op_sel:[1,0,0] neg_lo:[0,0,1] neg_hi:[0,0,1]
	v_pk_add_f16 v5, v11, v13 op_sel:[0,1] op_sel_hi:[1,0]
	v_pk_add_f16 v10, v11, v13 op_sel:[0,1] op_sel_hi:[1,0] neg_lo:[0,1] neg_hi:[0,1]
	v_pk_add_f16 v11, v14, v13 op_sel:[0,1] op_sel_hi:[1,0] neg_lo:[0,1] neg_hi:[0,1]
	;; [unrolled: 1-line block ×3, first 2 shown]
	v_bfi_b32 v5, s4, v5, v10
	v_bfi_b32 v4, s4, v11, v4
	ds_write_b32 v6, v5
	ds_write_b32 v1, v4 offset:4224
	ds_read_b32 v4, v27 offset:792
	ds_read_b32 v5, v1 offset:3960
	s_waitcnt lgkmcnt(0)
	v_pk_add_f16 v6, v4, v5 neg_lo:[0,1] neg_hi:[0,1]
	v_pk_add_f16 v4, v4, v5
	v_bfi_b32 v5, s4, v6, v4
	v_bfi_b32 v4, s4, v4, v6
	v_pk_mul_f16 v5, v5, 0.5 op_sel_hi:[1,0]
	v_pk_mul_f16 v6, v4, 0.5 op_sel_hi:[1,0]
	s_waitcnt vmcnt(5)
	v_pk_mul_f16 v10, v7, v5 op_sel:[1,0]
	v_pk_mul_f16 v5, v7, v5 op_sel_hi:[0,1]
	v_pk_fma_f16 v4, v4, 0.5, v10 op_sel_hi:[1,0,1]
	v_sub_f16_e32 v7, v6, v10
	v_sub_f16_sdwa v6, v10, v6 dst_sel:DWORD dst_unused:UNUSED_PAD src0_sel:WORD_1 src1_sel:WORD_1
	v_pk_add_f16 v10, v4, v5 op_sel:[0,1] op_sel_hi:[1,0]
	v_pk_add_f16 v4, v4, v5 op_sel:[0,1] op_sel_hi:[1,0] neg_lo:[0,1] neg_hi:[0,1]
	v_sub_f16_sdwa v7, v7, v5 dst_sel:DWORD dst_unused:UNUSED_PAD src0_sel:DWORD src1_sel:WORD_1
	v_sub_f16_e32 v5, v6, v5
	v_bfi_b32 v4, s4, v10, v4
	ds_write_b16 v1, v5 offset:3962
	ds_write_b32 v27, v4 offset:792
	ds_write_b16 v1, v7 offset:3960
	ds_read_b32 v4, v27 offset:1056
	ds_read_b32 v5, v1 offset:3696
	s_waitcnt lgkmcnt(0)
	v_pk_add_f16 v6, v4, v5 neg_lo:[0,1] neg_hi:[0,1]
	v_pk_add_f16 v4, v4, v5
	v_bfi_b32 v5, s4, v6, v4
	v_bfi_b32 v4, s4, v4, v6
	v_pk_mul_f16 v5, v5, 0.5 op_sel_hi:[1,0]
	v_pk_mul_f16 v6, v4, 0.5 op_sel_hi:[1,0]
	s_waitcnt vmcnt(4)
	v_pk_mul_f16 v7, v12, v5 op_sel:[1,0]
	v_pk_mul_f16 v5, v12, v5 op_sel_hi:[0,1]
	v_pk_fma_f16 v4, v4, 0.5, v7 op_sel_hi:[1,0,1]
	v_sub_f16_e32 v10, v6, v7
	v_sub_f16_sdwa v6, v7, v6 dst_sel:DWORD dst_unused:UNUSED_PAD src0_sel:WORD_1 src1_sel:WORD_1
	v_pk_add_f16 v7, v4, v5 op_sel:[0,1] op_sel_hi:[1,0]
	v_pk_add_f16 v4, v4, v5 op_sel:[0,1] op_sel_hi:[1,0] neg_lo:[0,1] neg_hi:[0,1]
	v_sub_f16_sdwa v10, v10, v5 dst_sel:DWORD dst_unused:UNUSED_PAD src0_sel:DWORD src1_sel:WORD_1
	v_sub_f16_e32 v5, v6, v5
	v_bfi_b32 v4, s4, v7, v4
	ds_write_b16 v1, v5 offset:3698
	ds_write_b32 v27, v4 offset:1056
	ds_write_b16 v1, v10 offset:3696
	;; [unrolled: 23-line block ×4, first 2 shown]
	ds_read_b32 v4, v27 offset:1848
	ds_read_b32 v5, v1 offset:2904
	s_waitcnt lgkmcnt(0)
	v_pk_add_f16 v6, v4, v5 neg_lo:[0,1] neg_hi:[0,1]
	v_pk_add_f16 v4, v4, v5
	v_bfi_b32 v5, s4, v6, v4
	v_bfi_b32 v4, s4, v4, v6
	v_pk_mul_f16 v5, v5, 0.5 op_sel_hi:[1,0]
	v_pk_mul_f16 v4, v4, 0.5 op_sel_hi:[1,0]
	s_waitcnt vmcnt(1)
	v_pk_fma_f16 v6, v18, v5, v4 op_sel:[1,0,0]
	v_pk_mul_f16 v7, v18, v5 op_sel_hi:[0,1]
	v_pk_add_f16 v10, v6, v7 op_sel:[0,1] op_sel_hi:[1,0]
	v_pk_add_f16 v6, v6, v7 op_sel:[0,1] op_sel_hi:[1,0] neg_lo:[0,1] neg_hi:[0,1]
	v_bfi_b32 v6, s4, v10, v6
	v_pk_fma_f16 v10, v18, v5, v4 op_sel:[1,0,0] neg_lo:[1,0,0] neg_hi:[1,0,0]
	v_pk_fma_f16 v4, v18, v5, v4 op_sel:[1,0,0] neg_lo:[0,0,1] neg_hi:[0,0,1]
	v_pk_add_f16 v10, v10, v7 op_sel:[0,1] op_sel_hi:[1,0] neg_lo:[0,1] neg_hi:[0,1]
	v_pk_add_f16 v4, v4, v7 op_sel:[0,1] op_sel_hi:[1,0] neg_lo:[0,1] neg_hi:[0,1]
	v_bfi_b32 v4, s4, v10, v4
	ds_write_b32 v27, v6 offset:1848
	ds_write_b32 v1, v4 offset:2904
	ds_read_b32 v4, v27 offset:2112
	ds_read_b32 v5, v1 offset:2640
	s_waitcnt lgkmcnt(0)
	v_pk_add_f16 v6, v4, v5 neg_lo:[0,1] neg_hi:[0,1]
	v_pk_add_f16 v4, v4, v5
	v_bfi_b32 v5, s4, v6, v4
	v_bfi_b32 v4, s4, v4, v6
	v_pk_mul_f16 v5, v5, 0.5 op_sel_hi:[1,0]
	v_pk_mul_f16 v4, v4, 0.5 op_sel_hi:[1,0]
	s_waitcnt vmcnt(0)
	v_pk_fma_f16 v6, v19, v5, v4 op_sel:[1,0,0]
	v_pk_mul_f16 v7, v19, v5 op_sel_hi:[0,1]
	v_pk_add_f16 v10, v6, v7 op_sel:[0,1] op_sel_hi:[1,0]
	v_pk_add_f16 v6, v6, v7 op_sel:[0,1] op_sel_hi:[1,0] neg_lo:[0,1] neg_hi:[0,1]
	v_bfi_b32 v6, s4, v10, v6
	v_pk_fma_f16 v10, v19, v5, v4 op_sel:[1,0,0] neg_lo:[1,0,0] neg_hi:[1,0,0]
	v_pk_fma_f16 v4, v19, v5, v4 op_sel:[1,0,0] neg_lo:[0,0,1] neg_hi:[0,0,1]
	v_pk_add_f16 v10, v10, v7 op_sel:[0,1] op_sel_hi:[1,0] neg_lo:[0,1] neg_hi:[0,1]
	v_pk_add_f16 v4, v4, v7 op_sel:[0,1] op_sel_hi:[1,0] neg_lo:[0,1] neg_hi:[0,1]
	v_bfi_b32 v4, s4, v10, v4
	ds_write_b32 v27, v6 offset:2112
	ds_write_b32 v1, v4 offset:2640
	s_waitcnt lgkmcnt(0)
	s_barrier
	s_and_saveexec_b64 s[4:5], s[0:1]
	s_cbranch_execz .LBB0_23
; %bb.21:
	ds_read2_b32 v[4:5], v27 offset1:66
	v_mov_b32_e32 v1, s3
	v_add_co_u32_e32 v2, vcc, s2, v2
	v_addc_co_u32_e32 v1, vcc, v1, v3, vcc
	ds_read2_b32 v[6:7], v27 offset0:132 offset1:198
	v_add_co_u32_e32 v8, vcc, v2, v8
	v_addc_co_u32_e32 v9, vcc, v1, v9, vcc
	s_waitcnt lgkmcnt(1)
	global_store_dword v[8:9], v4, off
	global_store_dword v[8:9], v5, off offset:264
	s_waitcnt lgkmcnt(0)
	global_store_dword v[8:9], v6, off offset:528
	v_add_u32_e32 v5, 0x400, v27
	ds_read2_b32 v[3:4], v5 offset0:8 offset1:74
	ds_read2_b32 v[5:6], v5 offset0:140 offset1:206
	global_store_dword v[8:9], v7, off offset:792
	v_add_u32_e32 v7, 0x800, v27
	ds_read2_b32 v[10:11], v7 offset0:16 offset1:82
	s_waitcnt lgkmcnt(2)
	global_store_dword v[8:9], v3, off offset:1056
	global_store_dword v[8:9], v4, off offset:1320
	s_waitcnt lgkmcnt(1)
	global_store_dword v[8:9], v5, off offset:1584
	global_store_dword v[8:9], v6, off offset:1848
	s_waitcnt lgkmcnt(0)
	global_store_dword v[8:9], v10, off offset:2112
	ds_read2_b32 v[3:4], v7 offset0:148 offset1:214
	v_add_u32_e32 v7, 0xc00, v27
	ds_read2_b32 v[5:6], v7 offset0:24 offset1:90
	global_store_dword v[8:9], v11, off offset:2376
	ds_read2_b32 v[10:11], v7 offset0:156 offset1:222
	s_waitcnt lgkmcnt(2)
	global_store_dword v[8:9], v3, off offset:2640
	global_store_dword v[8:9], v4, off offset:2904
	s_waitcnt lgkmcnt(1)
	global_store_dword v[8:9], v5, off offset:3168
	global_store_dword v[8:9], v6, off offset:3432
	;; [unrolled: 3-line block ×3, first 2 shown]
	v_add_u32_e32 v3, 0x1000, v27
	ds_read2_b32 v[3:4], v3 offset0:32 offset1:98
	v_add_co_u32_e32 v5, vcc, 0x1000, v8
	v_addc_co_u32_e32 v6, vcc, 0, v9, vcc
	s_movk_i32 s0, 0x41
	v_cmp_eq_u32_e32 vcc, s0, v0
	s_waitcnt lgkmcnt(0)
	global_store_dword v[5:6], v3, off offset:128
	global_store_dword v[5:6], v4, off offset:392
	s_and_b64 exec, exec, vcc
	s_cbranch_execz .LBB0_23
; %bb.22:
	ds_read_b32 v3, v27 offset:4492
	v_add_co_u32_e32 v0, vcc, 0x1000, v2
	v_addc_co_u32_e32 v1, vcc, 0, v1, vcc
	s_waitcnt lgkmcnt(0)
	global_store_dword v[0:1], v3, off offset:656
.LBB0_23:
	s_endpgm
	.section	.rodata,"a",@progbits
	.p2align	6, 0x0
	.amdhsa_kernel fft_rtc_fwd_len1188_factors_6_11_2_3_3_wgs_198_tpt_66_halfLds_half_ip_CI_unitstride_sbrr_R2C_dirReg
		.amdhsa_group_segment_fixed_size 0
		.amdhsa_private_segment_fixed_size 0
		.amdhsa_kernarg_size 88
		.amdhsa_user_sgpr_count 6
		.amdhsa_user_sgpr_private_segment_buffer 1
		.amdhsa_user_sgpr_dispatch_ptr 0
		.amdhsa_user_sgpr_queue_ptr 0
		.amdhsa_user_sgpr_kernarg_segment_ptr 1
		.amdhsa_user_sgpr_dispatch_id 0
		.amdhsa_user_sgpr_flat_scratch_init 0
		.amdhsa_user_sgpr_private_segment_size 0
		.amdhsa_uses_dynamic_stack 0
		.amdhsa_system_sgpr_private_segment_wavefront_offset 0
		.amdhsa_system_sgpr_workgroup_id_x 1
		.amdhsa_system_sgpr_workgroup_id_y 0
		.amdhsa_system_sgpr_workgroup_id_z 0
		.amdhsa_system_sgpr_workgroup_info 0
		.amdhsa_system_vgpr_workitem_id 0
		.amdhsa_next_free_vgpr 99
		.amdhsa_next_free_sgpr 24
		.amdhsa_reserve_vcc 1
		.amdhsa_reserve_flat_scratch 0
		.amdhsa_float_round_mode_32 0
		.amdhsa_float_round_mode_16_64 0
		.amdhsa_float_denorm_mode_32 3
		.amdhsa_float_denorm_mode_16_64 3
		.amdhsa_dx10_clamp 1
		.amdhsa_ieee_mode 1
		.amdhsa_fp16_overflow 0
		.amdhsa_exception_fp_ieee_invalid_op 0
		.amdhsa_exception_fp_denorm_src 0
		.amdhsa_exception_fp_ieee_div_zero 0
		.amdhsa_exception_fp_ieee_overflow 0
		.amdhsa_exception_fp_ieee_underflow 0
		.amdhsa_exception_fp_ieee_inexact 0
		.amdhsa_exception_int_div_zero 0
	.end_amdhsa_kernel
	.text
.Lfunc_end0:
	.size	fft_rtc_fwd_len1188_factors_6_11_2_3_3_wgs_198_tpt_66_halfLds_half_ip_CI_unitstride_sbrr_R2C_dirReg, .Lfunc_end0-fft_rtc_fwd_len1188_factors_6_11_2_3_3_wgs_198_tpt_66_halfLds_half_ip_CI_unitstride_sbrr_R2C_dirReg
                                        ; -- End function
	.section	.AMDGPU.csdata,"",@progbits
; Kernel info:
; codeLenInByte = 14092
; NumSgprs: 28
; NumVgprs: 99
; ScratchSize: 0
; MemoryBound: 0
; FloatMode: 240
; IeeeMode: 1
; LDSByteSize: 0 bytes/workgroup (compile time only)
; SGPRBlocks: 3
; VGPRBlocks: 24
; NumSGPRsForWavesPerEU: 28
; NumVGPRsForWavesPerEU: 99
; Occupancy: 2
; WaveLimiterHint : 1
; COMPUTE_PGM_RSRC2:SCRATCH_EN: 0
; COMPUTE_PGM_RSRC2:USER_SGPR: 6
; COMPUTE_PGM_RSRC2:TRAP_HANDLER: 0
; COMPUTE_PGM_RSRC2:TGID_X_EN: 1
; COMPUTE_PGM_RSRC2:TGID_Y_EN: 0
; COMPUTE_PGM_RSRC2:TGID_Z_EN: 0
; COMPUTE_PGM_RSRC2:TIDIG_COMP_CNT: 0
	.type	__hip_cuid_a6a03a8f750aab8b,@object ; @__hip_cuid_a6a03a8f750aab8b
	.section	.bss,"aw",@nobits
	.globl	__hip_cuid_a6a03a8f750aab8b
__hip_cuid_a6a03a8f750aab8b:
	.byte	0                               ; 0x0
	.size	__hip_cuid_a6a03a8f750aab8b, 1

	.ident	"AMD clang version 19.0.0git (https://github.com/RadeonOpenCompute/llvm-project roc-6.4.0 25133 c7fe45cf4b819c5991fe208aaa96edf142730f1d)"
	.section	".note.GNU-stack","",@progbits
	.addrsig
	.addrsig_sym __hip_cuid_a6a03a8f750aab8b
	.amdgpu_metadata
---
amdhsa.kernels:
  - .args:
      - .actual_access:  read_only
        .address_space:  global
        .offset:         0
        .size:           8
        .value_kind:     global_buffer
      - .offset:         8
        .size:           8
        .value_kind:     by_value
      - .actual_access:  read_only
        .address_space:  global
        .offset:         16
        .size:           8
        .value_kind:     global_buffer
      - .actual_access:  read_only
        .address_space:  global
        .offset:         24
        .size:           8
        .value_kind:     global_buffer
      - .offset:         32
        .size:           8
        .value_kind:     by_value
      - .actual_access:  read_only
        .address_space:  global
        .offset:         40
        .size:           8
        .value_kind:     global_buffer
      - .actual_access:  read_only
        .address_space:  global
        .offset:         48
        .size:           8
        .value_kind:     global_buffer
      - .offset:         56
        .size:           4
        .value_kind:     by_value
      - .actual_access:  read_only
        .address_space:  global
        .offset:         64
        .size:           8
        .value_kind:     global_buffer
      - .actual_access:  read_only
        .address_space:  global
        .offset:         72
        .size:           8
        .value_kind:     global_buffer
      - .address_space:  global
        .offset:         80
        .size:           8
        .value_kind:     global_buffer
    .group_segment_fixed_size: 0
    .kernarg_segment_align: 8
    .kernarg_segment_size: 88
    .language:       OpenCL C
    .language_version:
      - 2
      - 0
    .max_flat_workgroup_size: 198
    .name:           fft_rtc_fwd_len1188_factors_6_11_2_3_3_wgs_198_tpt_66_halfLds_half_ip_CI_unitstride_sbrr_R2C_dirReg
    .private_segment_fixed_size: 0
    .sgpr_count:     28
    .sgpr_spill_count: 0
    .symbol:         fft_rtc_fwd_len1188_factors_6_11_2_3_3_wgs_198_tpt_66_halfLds_half_ip_CI_unitstride_sbrr_R2C_dirReg.kd
    .uniform_work_group_size: 1
    .uses_dynamic_stack: false
    .vgpr_count:     99
    .vgpr_spill_count: 0
    .wavefront_size: 64
amdhsa.target:   amdgcn-amd-amdhsa--gfx906
amdhsa.version:
  - 1
  - 2
...

	.end_amdgpu_metadata
